;; amdgpu-corpus repo=ROCm/rocFFT kind=compiled arch=gfx1100 opt=O3
	.text
	.amdgcn_target "amdgcn-amd-amdhsa--gfx1100"
	.amdhsa_code_object_version 6
	.protected	bluestein_single_fwd_len1275_dim1_dp_op_CI_CI ; -- Begin function bluestein_single_fwd_len1275_dim1_dp_op_CI_CI
	.globl	bluestein_single_fwd_len1275_dim1_dp_op_CI_CI
	.p2align	8
	.type	bluestein_single_fwd_len1275_dim1_dp_op_CI_CI,@function
bluestein_single_fwd_len1275_dim1_dp_op_CI_CI: ; @bluestein_single_fwd_len1275_dim1_dp_op_CI_CI
; %bb.0:
	s_load_b128 s[4:7], s[0:1], 0x28
	v_mul_u32_u24_e32 v1, 0x304, v0
	s_mov_b32 s2, exec_lo
	s_delay_alu instid0(VALU_DEP_1) | instskip(NEXT) | instid1(VALU_DEP_1)
	v_lshrrev_b32_e32 v1, 16, v1
	v_mad_u64_u32 v[253:254], null, s15, 3, v[1:2]
	v_mov_b32_e32 v254, 0
                                        ; kill: def $vgpr2 killed $sgpr0 killed $exec
	s_waitcnt lgkmcnt(0)
	s_delay_alu instid0(VALU_DEP_1)
	v_cmpx_gt_u64_e64 s[4:5], v[253:254]
	s_cbranch_execz .LBB0_15
; %bb.1:
	v_mul_hi_u32 v2, 0xaaaaaaab, v253
	s_clause 0x1
	s_load_b64 s[12:13], s[0:1], 0x0
	s_load_b64 s[14:15], s[0:1], 0x38
	v_mul_lo_u16 v1, 0x55, v1
	s_delay_alu instid0(VALU_DEP_1) | instskip(NEXT) | instid1(VALU_DEP_3)
	v_sub_nc_u16 v0, v0, v1
	v_lshrrev_b32_e32 v2, 1, v2
	s_delay_alu instid0(VALU_DEP_2) | instskip(NEXT) | instid1(VALU_DEP_2)
	v_and_b32_e32 v218, 0xffff, v0
	v_lshl_add_u32 v2, v2, 1, v2
	v_cmp_gt_u16_e32 vcc_lo, 0x4b, v0
	s_delay_alu instid0(VALU_DEP_3) | instskip(NEXT) | instid1(VALU_DEP_3)
	v_lshlrev_b32_e32 v255, 4, v218
	v_sub_nc_u32_e32 v1, v253, v2
	s_delay_alu instid0(VALU_DEP_1) | instskip(NEXT) | instid1(VALU_DEP_1)
	v_mul_u32_u24_e32 v204, 0x4fb, v1
	v_lshlrev_b32_e32 v254, 4, v204
	s_and_saveexec_b32 s3, vcc_lo
	s_cbranch_execz .LBB0_3
; %bb.2:
	s_load_b64 s[4:5], s[0:1], 0x18
	s_waitcnt lgkmcnt(0)
	v_add_co_u32 v18, s2, s12, v255
	s_delay_alu instid0(VALU_DEP_1) | instskip(NEXT) | instid1(VALU_DEP_2)
	v_add_co_ci_u32_e64 v19, null, s13, 0, s2
	v_add_co_u32 v24, s2, 0x1000, v18
	s_delay_alu instid0(VALU_DEP_1) | instskip(SKIP_1) | instid1(VALU_DEP_1)
	v_add_co_ci_u32_e64 v25, s2, 0, v19, s2
	v_add_co_u32 v40, s2, 0x2000, v18
	v_add_co_ci_u32_e64 v41, s2, 0, v19, s2
	v_add_co_u32 v52, s2, 0x3000, v18
	s_delay_alu instid0(VALU_DEP_1)
	v_add_co_ci_u32_e64 v53, s2, 0, v19, s2
	v_add_co_u32 v128, s2, 0x4000, v18
	s_load_b128 s[8:11], s[4:5], 0x0
	v_add_co_ci_u32_e64 v129, s2, 0, v19, s2
	s_clause 0x3
	global_load_b128 v[0:3], v255, s[12:13]
	global_load_b128 v[4:7], v255, s[12:13] offset:1200
	global_load_b128 v[8:11], v255, s[12:13] offset:2400
	;; [unrolled: 1-line block ×3, first 2 shown]
	s_waitcnt lgkmcnt(0)
	v_mad_u64_u32 v[36:37], null, s10, v253, 0
	v_mad_u64_u32 v[44:45], null, s8, v218, 0
	s_mul_i32 s4, s9, 0x4b0
	s_mul_hi_u32 s5, s8, 0x4b0
	s_delay_alu instid0(SALU_CYCLE_1) | instskip(NEXT) | instid1(VALU_DEP_2)
	s_add_i32 s5, s5, s4
	v_mov_b32_e32 v16, v37
	s_delay_alu instid0(VALU_DEP_2) | instskip(NEXT) | instid1(VALU_DEP_1)
	v_mov_b32_e32 v17, v45
	v_mad_u64_u32 v[26:27], null, s11, v253, v[16:17]
	v_mad_u64_u32 v[38:39], null, s9, v218, v[17:18]
	s_clause 0x1
	global_load_b128 v[16:19], v[24:25], off offset:704
	global_load_b128 v[20:23], v[24:25], off offset:1904
	v_mov_b32_e32 v37, v26
	s_clause 0x2
	global_load_b128 v[24:27], v[24:25], off offset:3104
	global_load_b128 v[28:31], v[40:41], off offset:208
	;; [unrolled: 1-line block ×3, first 2 shown]
	v_mov_b32_e32 v45, v38
	v_lshlrev_b64 v[46:47], 4, v[36:37]
	s_clause 0x1
	global_load_b128 v[36:39], v[40:41], off offset:2608
	global_load_b128 v[40:43], v[40:41], off offset:3808
	v_lshlrev_b64 v[44:45], 4, v[44:45]
	v_add_co_u32 v46, s2, s6, v46
	s_delay_alu instid0(VALU_DEP_1) | instskip(SKIP_1) | instid1(VALU_DEP_2)
	v_add_co_ci_u32_e64 v47, s2, s7, v47, s2
	s_mul_i32 s6, s8, 0x4b0
	v_add_co_u32 v56, s2, v46, v44
	s_delay_alu instid0(VALU_DEP_1) | instskip(SKIP_4) | instid1(VALU_DEP_1)
	v_add_co_ci_u32_e64 v57, s2, v47, v45, s2
	s_clause 0x1
	global_load_b128 v[44:47], v[52:53], off offset:912
	global_load_b128 v[48:51], v[52:53], off offset:2112
	v_add_co_u32 v60, s2, v56, s6
	v_add_co_ci_u32_e64 v61, s2, s5, v57, s2
	global_load_b128 v[52:55], v[52:53], off offset:3312
	v_add_co_u32 v64, s2, v60, s6
	s_delay_alu instid0(VALU_DEP_1) | instskip(SKIP_4) | instid1(VALU_DEP_1)
	v_add_co_ci_u32_e64 v65, s2, s5, v61, s2
	s_clause 0x1
	global_load_b128 v[56:59], v[56:57], off
	global_load_b128 v[60:63], v[60:61], off
	v_add_co_u32 v68, s2, v64, s6
	v_add_co_ci_u32_e64 v69, s2, s5, v65, s2
	s_delay_alu instid0(VALU_DEP_2) | instskip(NEXT) | instid1(VALU_DEP_1)
	v_add_co_u32 v72, s2, v68, s6
	v_add_co_ci_u32_e64 v73, s2, s5, v69, s2
	s_clause 0x1
	global_load_b128 v[64:67], v[64:65], off
	global_load_b128 v[68:71], v[68:69], off
	v_add_co_u32 v76, s2, v72, s6
	s_delay_alu instid0(VALU_DEP_1) | instskip(SKIP_2) | instid1(VALU_DEP_1)
	v_add_co_ci_u32_e64 v77, s2, s5, v73, s2
	global_load_b128 v[72:75], v[72:73], off
	v_add_co_u32 v80, s2, v76, s6
	v_add_co_ci_u32_e64 v81, s2, s5, v77, s2
	global_load_b128 v[76:79], v[76:77], off
	v_add_co_u32 v84, s2, v80, s6
	s_delay_alu instid0(VALU_DEP_1) | instskip(SKIP_2) | instid1(VALU_DEP_1)
	v_add_co_ci_u32_e64 v85, s2, s5, v81, s2
	global_load_b128 v[80:83], v[80:81], off
	v_add_co_u32 v88, s2, v84, s6
	v_add_co_ci_u32_e64 v89, s2, s5, v85, s2
	;; [unrolled: 7-line block ×6, first 2 shown]
	s_clause 0x1
	global_load_b128 v[116:119], v[128:129], off offset:416
	global_load_b128 v[120:123], v[128:129], off offset:1616
	global_load_b128 v[124:127], v[124:125], off
	global_load_b128 v[128:131], v[128:129], off offset:2816
	global_load_b128 v[132:135], v[132:133], off
	s_waitcnt vmcnt(19)
	v_mul_f64 v[136:137], v[58:59], v[2:3]
	v_mul_f64 v[2:3], v[56:57], v[2:3]
	s_waitcnt vmcnt(18)
	v_mul_f64 v[138:139], v[62:63], v[6:7]
	v_mul_f64 v[6:7], v[60:61], v[6:7]
	;; [unrolled: 3-line block ×14, first 2 shown]
	v_fma_f64 v[54:55], v[56:57], v[0:1], v[136:137]
	v_fma_f64 v[56:57], v[58:59], v[0:1], -v[2:3]
	v_fma_f64 v[0:1], v[60:61], v[4:5], v[138:139]
	v_fma_f64 v[2:3], v[62:63], v[4:5], -v[6:7]
	s_waitcnt vmcnt(4)
	v_mul_f64 v[166:167], v[114:115], v[118:119]
	v_mul_f64 v[118:119], v[112:113], v[118:119]
	s_waitcnt vmcnt(2)
	v_mul_f64 v[168:169], v[126:127], v[122:123]
	v_mul_f64 v[122:123], v[124:125], v[122:123]
	;; [unrolled: 3-line block ×3, first 2 shown]
	v_fma_f64 v[4:5], v[64:65], v[8:9], v[140:141]
	v_fma_f64 v[6:7], v[66:67], v[8:9], -v[10:11]
	v_fma_f64 v[8:9], v[68:69], v[12:13], v[142:143]
	v_fma_f64 v[10:11], v[70:71], v[12:13], -v[14:15]
	;; [unrolled: 2-line block ×12, first 2 shown]
	v_lshl_add_u32 v52, v218, 4, v254
	v_add_nc_u32_e32 v53, v254, v255
	v_fma_f64 v[58:59], v[112:113], v[116:117], v[166:167]
	v_fma_f64 v[60:61], v[114:115], v[116:117], -v[118:119]
	v_fma_f64 v[62:63], v[124:125], v[120:121], v[168:169]
	v_fma_f64 v[64:65], v[126:127], v[120:121], -v[122:123]
	;; [unrolled: 2-line block ×3, first 2 shown]
	ds_store_b128 v52, v[54:57]
	ds_store_b128 v53, v[0:3] offset:1200
	ds_store_b128 v53, v[4:7] offset:2400
	;; [unrolled: 1-line block ×16, first 2 shown]
.LBB0_3:
	s_or_b32 exec_lo, exec_lo, s3
	s_clause 0x1
	s_load_b64 s[4:5], s[0:1], 0x20
	s_load_b64 s[2:3], s[0:1], 0x8
	s_waitcnt lgkmcnt(0)
	s_barrier
	buffer_gl0_inv
                                        ; implicit-def: $vgpr8_vgpr9
                                        ; implicit-def: $vgpr28_vgpr29
                                        ; implicit-def: $vgpr36_vgpr37
                                        ; implicit-def: $vgpr40_vgpr41
                                        ; implicit-def: $vgpr44_vgpr45
                                        ; implicit-def: $vgpr52_vgpr53
                                        ; implicit-def: $vgpr56_vgpr57
                                        ; implicit-def: $vgpr64_vgpr65
                                        ; implicit-def: $vgpr68_vgpr69
                                        ; implicit-def: $vgpr72_vgpr73
                                        ; implicit-def: $vgpr60_vgpr61
                                        ; implicit-def: $vgpr48_vgpr49
                                        ; implicit-def: $vgpr32_vgpr33
                                        ; implicit-def: $vgpr24_vgpr25
                                        ; implicit-def: $vgpr20_vgpr21
                                        ; implicit-def: $vgpr16_vgpr17
                                        ; implicit-def: $vgpr12_vgpr13
	s_and_saveexec_b32 s0, vcc_lo
	s_cbranch_execz .LBB0_5
; %bb.4:
	v_lshl_add_u32 v0, v204, 4, v255
	ds_load_b128 v[8:11], v0
	ds_load_b128 v[28:31], v0 offset:1200
	ds_load_b128 v[36:39], v0 offset:2400
	;; [unrolled: 1-line block ×16, first 2 shown]
.LBB0_5:
	s_or_b32 exec_lo, exec_lo, s0
	s_waitcnt lgkmcnt(0)
	v_add_f64 v[162:163], v[30:31], -v[14:15]
	v_add_f64 v[168:169], v[28:29], -v[12:13]
	s_mov_b32 s0, 0x5d8e7cdc
	s_mov_b32 s8, 0x2a9d6da3
	s_mov_b32 s1, 0xbfd71e95
	s_mov_b32 s9, 0xbfe58eea
	v_add_f64 v[160:161], v[28:29], v[12:13]
	v_add_f64 v[166:167], v[30:31], v[14:15]
	v_add_f64 v[90:91], v[38:39], -v[18:19]
	v_add_f64 v[76:77], v[36:37], -v[16:17]
	s_mov_b32 s6, 0x370991
	s_mov_b32 s10, 0x75d4884
	s_mov_b32 s20, 0xeb564b22
	s_mov_b32 s7, 0x3fedd6d0
	s_mov_b32 s11, 0x3fe7a5f6
	s_mov_b32 s21, 0xbfefdd0d
	v_add_f64 v[78:79], v[36:37], v[16:17]
	v_add_f64 v[94:95], v[38:39], v[18:19]
	v_add_f64 v[96:97], v[42:43], -v[22:23]
	v_add_f64 v[80:81], v[40:41], -v[20:21]
	s_mov_b32 s16, 0x3259b75e
	s_mov_b32 s26, 0x7c9e640b
	;; [unrolled: 10-line block ×3, first 2 shown]
	s_mov_b32 s24, 0xacd6c6b4
	s_mov_b32 s29, 0x3fdc86fa
	s_mov_b32 s23, 0xbfe348c8
	s_mov_b32 s25, 0xbfc7851a
	v_add_f64 v[86:87], v[44:45], v[24:25]
	v_add_f64 v[110:111], v[46:47], v[26:27]
	v_mul_f64 v[176:177], v[162:163], s[0:1]
	v_mul_f64 v[184:185], v[168:169], s[0:1]
	v_mul_f64 v[186:187], v[162:163], s[8:9]
	v_mul_f64 v[192:193], v[168:169], s[8:9]
	v_add_f64 v[88:89], v[52:53], -v[32:33]
	v_add_f64 v[114:115], v[54:55], -v[34:35]
	s_mov_b32 s30, 0x7faef3
	s_mov_b32 s34, 0x923c349f
	v_mul_f64 v[136:137], v[90:91], s[8:9]
	v_mul_f64 v[138:139], v[76:77], s[8:9]
	;; [unrolled: 1-line block ×4, first 2 shown]
	s_mov_b32 s36, 0x4363dd80
	s_mov_b32 s31, 0xbfef7484
	;; [unrolled: 1-line block ×4, first 2 shown]
	v_add_f64 v[118:119], v[54:55], v[34:35]
	v_add_f64 v[120:121], v[58:59], -v[50:51]
	v_mul_f64 v[144:145], v[96:97], s[26:27]
	v_mul_f64 v[148:149], v[80:81], s[26:27]
	;; [unrolled: 1-line block ×4, first 2 shown]
	s_mov_b32 s40, 0xc61f0d01
	s_mov_b32 s38, 0x910ea3b9
	;; [unrolled: 1-line block ×6, first 2 shown]
	v_mul_f64 v[158:159], v[84:85], s[20:21]
	v_mul_f64 v[152:153], v[106:107], s[20:21]
	v_mul_f64 v[146:147], v[106:107], s[24:25]
	v_mul_f64 v[150:151], v[84:85], s[24:25]
	v_add_f64 v[124:125], v[66:67], -v[62:63]
	s_mov_b32 s47, 0xbfe0d888
	s_mov_b32 s43, 0x3feca52d
	;; [unrolled: 1-line block ×5, first 2 shown]
	v_fma_f64 v[0:1], v[160:161], s[6:7], v[176:177]
	v_fma_f64 v[2:3], v[166:167], s[6:7], -v[184:185]
	v_fma_f64 v[4:5], v[160:161], s[10:11], v[186:187]
	v_fma_f64 v[6:7], v[166:167], s[10:11], -v[192:193]
	v_mul_f64 v[174:175], v[88:89], s[34:35]
	v_mul_f64 v[172:173], v[114:115], s[34:35]
	;; [unrolled: 1-line block ×4, first 2 shown]
	v_fma_f64 v[92:93], v[78:79], s[10:11], v[136:137]
	v_fma_f64 v[98:99], v[94:95], s[10:11], -v[138:139]
	v_fma_f64 v[102:103], v[78:79], s[16:17], v[126:127]
	v_fma_f64 v[104:105], v[94:95], s[16:17], -v[130:131]
	s_mov_b32 s44, s0
	s_barrier
	buffer_gl0_inv
	v_mul_f64 v[182:183], v[120:121], s[18:19]
	v_fma_f64 v[108:109], v[82:83], s[28:29], v[144:145]
	v_fma_f64 v[112:113], v[100:101], s[28:29], -v[148:149]
	v_fma_f64 v[116:117], v[82:83], s[22:23], v[140:141]
	v_fma_f64 v[122:123], v[100:101], s[22:23], -v[142:143]
	v_mul_f64 v[164:165], v[120:121], s[48:49]
	v_fma_f64 v[132:133], v[110:111], s[16:17], -v[158:159]
	v_fma_f64 v[128:129], v[86:87], s[16:17], v[152:153]
	v_fma_f64 v[134:135], v[86:87], s[30:31], v[146:147]
	v_fma_f64 v[178:179], v[110:111], s[30:31], -v[150:151]
	v_mul_f64 v[196:197], v[124:125], s[46:47]
	v_add_f64 v[0:1], v[8:9], v[0:1]
	v_add_f64 v[2:3], v[10:11], v[2:3]
	;; [unrolled: 1-line block ×4, first 2 shown]
	v_fma_f64 v[190:191], v[118:119], s[40:41], -v[174:175]
	v_fma_f64 v[200:201], v[118:119], s[38:39], -v[156:157]
	v_add_f64 v[0:1], v[92:93], v[0:1]
	v_add_f64 v[2:3], v[98:99], v[2:3]
	;; [unrolled: 1-line block ×5, first 2 shown]
	v_add_f64 v[98:99], v[56:57], -v[48:49]
	v_add_f64 v[102:103], v[56:57], v[48:49]
	v_add_f64 v[104:105], v[64:65], -v[60:61]
	v_add_f64 v[0:1], v[108:109], v[0:1]
	v_add_f64 v[2:3], v[112:113], v[2:3]
	;; [unrolled: 1-line block ×5, first 2 shown]
	v_mul_f64 v[188:189], v[98:99], s[18:19]
	v_mul_f64 v[170:171], v[98:99], s[48:49]
	v_fma_f64 v[116:117], v[92:93], s[40:41], v[172:173]
	v_fma_f64 v[194:195], v[92:93], s[38:39], v[154:155]
	v_add_f64 v[108:109], v[64:65], v[60:61]
	v_add_f64 v[112:113], v[68:69], -v[72:73]
	v_mul_f64 v[198:199], v[104:105], s[46:47]
	v_mul_f64 v[180:181], v[104:105], s[42:43]
	v_fma_f64 v[205:206], v[102:103], s[22:23], v[182:183]
	v_fma_f64 v[209:210], v[102:103], s[40:41], v[164:165]
	v_add_f64 v[0:1], v[128:129], v[0:1]
	v_add_f64 v[2:3], v[132:133], v[2:3]
	;; [unrolled: 1-line block ×5, first 2 shown]
	v_add_f64 v[132:133], v[70:71], -v[74:75]
	v_mul_f64 v[178:179], v[124:125], s[42:43]
	v_fma_f64 v[207:208], v[122:123], s[22:23], -v[188:189]
	v_fma_f64 v[211:212], v[122:123], s[40:41], -v[170:171]
	v_add_f64 v[134:135], v[70:71], v[74:75]
	v_mul_f64 v[202:203], v[112:113], s[24:25]
	v_fma_f64 v[213:214], v[108:109], s[38:39], v[196:197]
	v_add_f64 v[0:1], v[116:117], v[0:1]
	v_add_f64 v[2:3], v[190:191], v[2:3]
	;; [unrolled: 1-line block ×5, first 2 shown]
	v_mul_f64 v[200:201], v[132:133], s[24:25]
	v_mul_f64 v[190:191], v[132:133], s[44:45]
	v_mul_f64 v[194:195], v[112:113], s[44:45]
	v_fma_f64 v[215:216], v[128:129], s[38:39], -v[198:199]
	v_fma_f64 v[219:220], v[108:109], s[28:29], v[178:179]
	v_fma_f64 v[221:222], v[128:129], s[28:29], -v[180:181]
	v_add_f64 v[0:1], v[205:206], v[0:1]
	v_add_f64 v[2:3], v[207:208], v[2:3]
	;; [unrolled: 1-line block ×4, first 2 shown]
	v_fma_f64 v[207:208], v[134:135], s[30:31], -v[202:203]
	v_fma_f64 v[205:206], v[116:117], s[30:31], v[200:201]
	v_fma_f64 v[209:210], v[116:117], s[6:7], v[190:191]
	v_fma_f64 v[211:212], v[134:135], s[6:7], -v[194:195]
	v_add_f64 v[0:1], v[213:214], v[0:1]
	v_add_f64 v[2:3], v[215:216], v[2:3]
	;; [unrolled: 1-line block ×4, first 2 shown]
	s_delay_alu instid0(VALU_DEP_4) | instskip(NEXT) | instid1(VALU_DEP_4)
	v_add_f64 v[213:214], v[205:206], v[0:1]
	v_add_f64 v[215:216], v[207:208], v[2:3]
	s_delay_alu instid0(VALU_DEP_4) | instskip(NEXT) | instid1(VALU_DEP_4)
	v_add_f64 v[221:222], v[209:210], v[4:5]
	v_add_f64 v[223:224], v[211:212], v[6:7]
	s_and_saveexec_b32 s33, vcc_lo
	s_cbranch_execz .LBB0_7
; %bb.6:
	v_add_f64 v[0:1], v[10:11], v[30:31]
	v_add_f64 v[2:3], v[8:9], v[28:29]
	s_mov_b32 s53, 0x3fe9895b
	s_mov_b32 s52, s18
	v_mul_f64 v[28:29], v[166:167], s[28:29]
	s_mov_b32 s55, 0x3fc7851a
	s_mov_b32 s54, s24
	v_mul_f64 v[4:5], v[166:167], s[38:39]
	s_mov_b32 s51, 0x3fefdd0d
	s_mov_b32 s50, s20
	;; [unrolled: 1-line block ×4, first 2 shown]
	v_mul_f64 v[205:206], v[132:133], s[18:19]
	v_add_f64 v[0:1], v[0:1], v[38:39]
	v_add_f64 v[2:3], v[2:3], v[36:37]
	v_mul_f64 v[38:39], v[162:163], s[24:25]
	v_mul_f64 v[36:37], v[166:167], s[6:7]
	v_fma_f64 v[30:31], v[168:169], s[42:43], v[28:29]
	v_fma_f64 v[28:29], v[168:169], s[26:27], v[28:29]
	;; [unrolled: 1-line block ×4, first 2 shown]
	v_add_f64 v[0:1], v[0:1], v[42:43]
	v_add_f64 v[2:3], v[2:3], v[40:41]
	v_mul_f64 v[40:41], v[162:163], s[46:47]
	v_mul_f64 v[42:43], v[162:163], s[18:19]
	v_add_f64 v[36:37], v[184:185], v[36:37]
	v_mul_f64 v[184:185], v[134:135], s[16:17]
	v_add_f64 v[6:7], v[10:11], v[6:7]
	v_add_f64 v[4:5], v[10:11], v[4:5]
	;; [unrolled: 1-line block ×4, first 2 shown]
	v_mul_f64 v[44:45], v[162:163], s[34:35]
	v_mul_f64 v[46:47], v[162:163], s[20:21]
	s_delay_alu instid0(VALU_DEP_4) | instskip(NEXT) | instid1(VALU_DEP_4)
	v_add_f64 v[0:1], v[0:1], v[54:55]
	v_add_f64 v[2:3], v[2:3], v[52:53]
	v_fma_f64 v[52:53], v[160:161], s[38:39], v[40:41]
	v_fma_f64 v[40:41], v[160:161], s[38:39], -v[40:41]
	v_fma_f64 v[54:55], v[160:161], s[22:23], v[42:43]
	v_fma_f64 v[42:43], v[160:161], s[22:23], -v[42:43]
	v_add_f64 v[0:1], v[0:1], v[58:59]
	v_add_f64 v[2:3], v[2:3], v[56:57]
	v_fma_f64 v[56:57], v[160:161], s[40:41], v[44:45]
	v_fma_f64 v[44:45], v[160:161], s[40:41], -v[44:45]
	v_fma_f64 v[58:59], v[160:161], s[16:17], v[46:47]
	v_fma_f64 v[46:47], v[160:161], s[16:17], -v[46:47]
	v_add_f64 v[52:53], v[8:9], v[52:53]
	v_add_f64 v[40:41], v[8:9], v[40:41]
	;; [unrolled: 1-line block ×11, first 2 shown]
	s_delay_alu instid0(VALU_DEP_3) | instskip(NEXT) | instid1(VALU_DEP_3)
	v_add_f64 v[0:1], v[0:1], v[74:75]
	v_add_f64 v[2:3], v[2:3], v[72:73]
	s_delay_alu instid0(VALU_DEP_2) | instskip(NEXT) | instid1(VALU_DEP_2)
	v_add_f64 v[0:1], v[0:1], v[62:63]
	v_add_f64 v[2:3], v[2:3], v[60:61]
	v_mul_f64 v[62:63], v[160:161], s[6:7]
	s_delay_alu instid0(VALU_DEP_3) | instskip(NEXT) | instid1(VALU_DEP_3)
	v_add_f64 v[0:1], v[0:1], v[50:51]
	v_add_f64 v[2:3], v[2:3], v[48:49]
	v_mul_f64 v[48:49], v[162:163], s[26:27]
	v_fma_f64 v[50:51], v[160:161], s[30:31], v[38:39]
	v_fma_f64 v[38:39], v[160:161], s[30:31], -v[38:39]
	v_add_f64 v[62:63], v[62:63], -v[176:177]
	v_add_f64 v[162:163], v[10:11], v[30:31]
	v_mul_f64 v[176:177], v[124:125], s[34:35]
	v_add_f64 v[0:1], v[0:1], v[34:35]
	v_add_f64 v[2:3], v[2:3], v[32:33]
	v_mul_f64 v[34:35], v[160:161], s[10:11]
	v_mul_f64 v[32:33], v[166:167], s[10:11]
	v_fma_f64 v[60:61], v[160:161], s[28:29], v[48:49]
	v_fma_f64 v[48:49], v[160:161], s[28:29], -v[48:49]
	v_add_f64 v[50:51], v[8:9], v[50:51]
	v_add_f64 v[38:39], v[8:9], v[38:39]
	;; [unrolled: 1-line block ×6, first 2 shown]
	v_mul_f64 v[36:37], v[118:119], s[22:23]
	v_mul_f64 v[62:63], v[120:121], s[42:43]
	v_add_f64 v[0:1], v[0:1], v[26:27]
	v_add_f64 v[2:3], v[2:3], v[24:25]
	v_mul_f64 v[24:25], v[166:167], s[16:17]
	v_add_f64 v[34:35], v[34:35], -v[186:187]
	v_add_f64 v[32:33], v[192:193], v[32:33]
	v_add_f64 v[48:49], v[8:9], v[48:49]
	v_mul_f64 v[192:193], v[114:115], s[24:25]
	v_add_f64 v[0:1], v[0:1], v[22:23]
	v_add_f64 v[2:3], v[2:3], v[20:21]
	v_mul_f64 v[20:21], v[166:167], s[40:41]
	v_fma_f64 v[26:27], v[168:169], s[50:51], v[24:25]
	v_fma_f64 v[24:25], v[168:169], s[20:21], v[24:25]
	v_add_f64 v[34:35], v[8:9], v[34:35]
	v_add_f64 v[32:33], v[10:11], v[32:33]
	;; [unrolled: 1-line block ×4, first 2 shown]
	v_mul_f64 v[16:17], v[166:167], s[22:23]
	v_fma_f64 v[22:23], v[168:169], s[48:49], v[20:21]
	v_fma_f64 v[20:21], v[168:169], s[34:35], v[20:21]
	v_add_f64 v[74:75], v[10:11], v[26:27]
	v_add_f64 v[42:43], v[10:11], v[24:25]
	v_mul_f64 v[24:25], v[110:111], s[10:11]
	v_mul_f64 v[26:27], v[106:107], s[56:57]
	v_add_f64 v[14:15], v[0:1], v[14:15]
	v_mul_f64 v[0:1], v[166:167], s[30:31]
	v_fma_f64 v[18:19], v[168:169], s[52:53], v[16:17]
	v_fma_f64 v[16:17], v[168:169], s[18:19], v[16:17]
	v_add_f64 v[12:13], v[2:3], v[12:13]
	v_add_f64 v[72:73], v[10:11], v[20:21]
	;; [unrolled: 1-line block ×3, first 2 shown]
	v_mul_f64 v[20:21], v[100:101], s[38:39]
	v_add_f64 v[70:71], v[10:11], v[22:23]
	v_mul_f64 v[22:23], v[96:97], s[46:47]
	v_mul_f64 v[60:61], v[122:123], s[28:29]
	v_fma_f64 v[2:3], v[168:169], s[54:55], v[0:1]
	v_fma_f64 v[0:1], v[168:169], s[24:25], v[0:1]
	v_add_f64 v[66:67], v[10:11], v[16:17]
	v_mul_f64 v[16:17], v[94:95], s[6:7]
	v_add_f64 v[64:65], v[10:11], v[18:19]
	v_mul_f64 v[18:19], v[90:91], s[44:45]
	v_mul_f64 v[168:169], v[128:129], s[40:41]
	v_add_f64 v[2:3], v[10:11], v[2:3]
	v_add_f64 v[0:1], v[10:11], v[0:1]
	v_fma_f64 v[10:11], v[80:81], s[36:37], v[20:21]
	v_fma_f64 v[8:9], v[76:77], s[0:1], v[16:17]
	;; [unrolled: 1-line block ×3, first 2 shown]
	s_delay_alu instid0(VALU_DEP_2) | instskip(SKIP_1) | instid1(VALU_DEP_3)
	v_add_f64 v[2:3], v[8:9], v[2:3]
	v_fma_f64 v[8:9], v[78:79], s[6:7], v[18:19]
	v_add_f64 v[0:1], v[16:17], v[0:1]
	v_fma_f64 v[16:17], v[78:79], s[6:7], -v[18:19]
	v_fma_f64 v[18:19], v[80:81], s[46:47], v[20:21]
	v_add_f64 v[2:3], v[10:11], v[2:3]
	v_add_f64 v[8:9], v[8:9], v[50:51]
	v_fma_f64 v[10:11], v[82:83], s[38:39], v[22:23]
	v_add_f64 v[16:17], v[16:17], v[38:39]
	v_add_f64 v[0:1], v[18:19], v[0:1]
	v_fma_f64 v[18:19], v[82:83], s[38:39], -v[22:23]
	v_mul_f64 v[50:51], v[114:115], s[18:19]
	v_mul_f64 v[38:39], v[106:107], s[52:53]
	v_add_f64 v[8:9], v[10:11], v[8:9]
	v_fma_f64 v[10:11], v[84:85], s[8:9], v[24:25]
	v_add_f64 v[16:17], v[18:19], v[16:17]
	v_fma_f64 v[18:19], v[84:85], s[56:57], v[24:25]
	v_mul_f64 v[24:25], v[100:101], s[16:17]
	s_delay_alu instid0(VALU_DEP_4) | instskip(SKIP_1) | instid1(VALU_DEP_4)
	v_add_f64 v[2:3], v[10:11], v[2:3]
	v_fma_f64 v[10:11], v[86:87], s[10:11], v[26:27]
	v_add_f64 v[0:1], v[18:19], v[0:1]
	v_fma_f64 v[18:19], v[86:87], s[10:11], -v[26:27]
	v_fma_f64 v[22:23], v[80:81], s[50:51], v[24:25]
	v_mul_f64 v[26:27], v[96:97], s[20:21]
	v_add_f64 v[8:9], v[10:11], v[8:9]
	v_fma_f64 v[10:11], v[88:89], s[52:53], v[36:37]
	v_add_f64 v[16:17], v[18:19], v[16:17]
	v_fma_f64 v[18:19], v[88:89], s[18:19], v[36:37]
	v_mul_f64 v[36:37], v[110:111], s[22:23]
	s_delay_alu instid0(VALU_DEP_4) | instskip(SKIP_1) | instid1(VALU_DEP_4)
	v_add_f64 v[2:3], v[10:11], v[2:3]
	v_fma_f64 v[10:11], v[92:93], s[22:23], v[50:51]
	v_add_f64 v[0:1], v[18:19], v[0:1]
	v_fma_f64 v[18:19], v[92:93], s[22:23], -v[50:51]
	v_mul_f64 v[50:51], v[118:119], s[6:7]
	s_delay_alu instid0(VALU_DEP_4) | instskip(SKIP_1) | instid1(VALU_DEP_4)
	v_add_f64 v[8:9], v[10:11], v[8:9]
	v_fma_f64 v[10:11], v[98:99], s[26:27], v[60:61]
	v_add_f64 v[16:17], v[18:19], v[16:17]
	v_fma_f64 v[18:19], v[98:99], s[42:43], v[60:61]
	v_mul_f64 v[60:61], v[122:123], s[30:31]
	s_delay_alu instid0(VALU_DEP_4) | instskip(SKIP_1) | instid1(VALU_DEP_4)
	v_add_f64 v[2:3], v[10:11], v[2:3]
	v_fma_f64 v[10:11], v[102:103], s[28:29], v[62:63]
	v_add_f64 v[0:1], v[18:19], v[0:1]
	v_fma_f64 v[18:19], v[102:103], s[28:29], -v[62:63]
	v_mul_f64 v[62:63], v[120:121], s[24:25]
	s_delay_alu instid0(VALU_DEP_4) | instskip(SKIP_1) | instid1(VALU_DEP_4)
	;; [unrolled: 12-line block ×3, first 2 shown]
	v_add_f64 v[8:9], v[10:11], v[8:9]
	v_fma_f64 v[10:11], v[112:113], s[20:21], v[184:185]
	v_add_f64 v[16:17], v[18:19], v[16:17]
	v_fma_f64 v[18:19], v[112:113], s[50:51], v[184:185]
	v_mul_f64 v[184:185], v[134:135], s[40:41]
	s_delay_alu instid0(VALU_DEP_4) | instskip(SKIP_1) | instid1(VALU_DEP_4)
	v_add_f64 v[10:11], v[10:11], v[2:3]
	v_mul_f64 v[2:3], v[132:133], s[50:51]
	v_add_f64 v[18:19], v[18:19], v[0:1]
	v_mul_f64 v[0:1], v[94:95], s[28:29]
	s_delay_alu instid0(VALU_DEP_3) | instskip(SKIP_1) | instid1(VALU_DEP_2)
	v_fma_f64 v[186:187], v[116:117], s[16:17], v[2:3]
	v_fma_f64 v[2:3], v[116:117], s[16:17], -v[2:3]
	v_add_f64 v[8:9], v[186:187], v[8:9]
	s_delay_alu instid0(VALU_DEP_2) | instskip(SKIP_2) | instid1(VALU_DEP_2)
	v_add_f64 v[16:17], v[2:3], v[16:17]
	v_fma_f64 v[2:3], v[76:77], s[26:27], v[0:1]
	v_fma_f64 v[0:1], v[76:77], s[42:43], v[0:1]
	v_add_f64 v[2:3], v[2:3], v[6:7]
	v_mul_f64 v[6:7], v[90:91], s[42:43]
	s_delay_alu instid0(VALU_DEP_3) | instskip(NEXT) | instid1(VALU_DEP_3)
	v_add_f64 v[0:1], v[0:1], v[4:5]
	v_add_f64 v[2:3], v[22:23], v[2:3]
	s_delay_alu instid0(VALU_DEP_3) | instskip(SKIP_3) | instid1(VALU_DEP_4)
	v_fma_f64 v[20:21], v[78:79], s[28:29], v[6:7]
	v_fma_f64 v[22:23], v[82:83], s[16:17], v[26:27]
	v_fma_f64 v[4:5], v[78:79], s[28:29], -v[6:7]
	v_fma_f64 v[6:7], v[80:81], s[20:21], v[24:25]
	v_add_f64 v[20:21], v[20:21], v[52:53]
	v_mul_f64 v[52:53], v[114:115], s[0:1]
	s_delay_alu instid0(VALU_DEP_4) | instskip(NEXT) | instid1(VALU_DEP_4)
	v_add_f64 v[4:5], v[4:5], v[40:41]
	v_add_f64 v[0:1], v[6:7], v[0:1]
	v_fma_f64 v[6:7], v[82:83], s[16:17], -v[26:27]
	v_mul_f64 v[40:41], v[118:119], s[40:41]
	v_add_f64 v[20:21], v[22:23], v[20:21]
	v_fma_f64 v[22:23], v[84:85], s[18:19], v[36:37]
	s_delay_alu instid0(VALU_DEP_4)
	v_add_f64 v[4:5], v[6:7], v[4:5]
	v_fma_f64 v[6:7], v[84:85], s[52:53], v[36:37]
	v_mul_f64 v[36:37], v[82:83], s[28:29]
	v_add_f64 v[40:41], v[174:175], v[40:41]
	v_mul_f64 v[174:175], v[128:129], s[22:23]
	v_add_f64 v[2:3], v[22:23], v[2:3]
	v_fma_f64 v[22:23], v[86:87], s[22:23], v[38:39]
	v_add_f64 v[0:1], v[6:7], v[0:1]
	v_fma_f64 v[6:7], v[86:87], s[22:23], -v[38:39]
	v_mul_f64 v[38:39], v[78:79], s[10:11]
	v_add_f64 v[36:37], v[36:37], -v[144:145]
	v_mul_f64 v[144:145], v[122:123], s[6:7]
	v_add_f64 v[20:21], v[22:23], v[20:21]
	v_fma_f64 v[22:23], v[88:89], s[44:45], v[50:51]
	v_add_f64 v[4:5], v[6:7], v[4:5]
	v_fma_f64 v[6:7], v[88:89], s[0:1], v[50:51]
	v_add_f64 v[38:39], v[38:39], -v[136:137]
	v_mul_f64 v[50:51], v[92:93], s[40:41]
	v_mul_f64 v[136:137], v[110:111], s[40:41]
	v_add_f64 v[2:3], v[22:23], v[2:3]
	v_fma_f64 v[22:23], v[92:93], s[6:7], v[52:53]
	v_add_f64 v[0:1], v[6:7], v[0:1]
	v_fma_f64 v[6:7], v[92:93], s[6:7], -v[52:53]
	v_add_f64 v[50:51], v[50:51], -v[172:173]
	v_mul_f64 v[52:53], v[122:123], s[22:23]
	v_mul_f64 v[172:173], v[120:121], s[46:47]
	v_add_f64 v[20:21], v[22:23], v[20:21]
	v_fma_f64 v[22:23], v[98:99], s[54:55], v[60:61]
	v_add_f64 v[4:5], v[6:7], v[4:5]
	v_fma_f64 v[6:7], v[98:99], s[24:25], v[60:61]
	v_add_f64 v[52:53], v[188:189], v[52:53]
	v_mul_f64 v[60:61], v[90:91], s[24:25]
	v_mul_f64 v[188:189], v[106:107], s[26:27]
	v_add_f64 v[2:3], v[22:23], v[2:3]
	v_fma_f64 v[22:23], v[102:103], s[30:31], v[62:63]
	v_add_f64 v[0:1], v[6:7], v[0:1]
	v_fma_f64 v[6:7], v[102:103], s[30:31], -v[62:63]
	v_mul_f64 v[62:63], v[100:101], s[40:41]
	s_delay_alu instid0(VALU_DEP_4) | instskip(SKIP_1) | instid1(VALU_DEP_4)
	v_add_f64 v[20:21], v[22:23], v[20:21]
	v_fma_f64 v[22:23], v[104:105], s[8:9], v[168:169]
	v_add_f64 v[4:5], v[6:7], v[4:5]
	v_fma_f64 v[6:7], v[104:105], s[56:57], v[168:169]
	v_mul_f64 v[168:169], v[114:115], s[26:27]
	s_delay_alu instid0(VALU_DEP_4) | instskip(SKIP_1) | instid1(VALU_DEP_4)
	v_add_f64 v[2:3], v[22:23], v[2:3]
	v_fma_f64 v[22:23], v[108:109], s[10:11], v[176:177]
	v_add_f64 v[0:1], v[6:7], v[0:1]
	v_fma_f64 v[6:7], v[108:109], s[10:11], -v[176:177]
	v_mul_f64 v[176:177], v[124:125], s[52:53]
	s_delay_alu instid0(VALU_DEP_4) | instskip(SKIP_1) | instid1(VALU_DEP_4)
	v_add_f64 v[20:21], v[22:23], v[20:21]
	v_fma_f64 v[22:23], v[112:113], s[48:49], v[184:185]
	v_add_f64 v[4:5], v[6:7], v[4:5]
	v_fma_f64 v[6:7], v[112:113], s[34:35], v[184:185]
	v_mul_f64 v[184:185], v[96:97], s[56:57]
	s_delay_alu instid0(VALU_DEP_4) | instskip(SKIP_1) | instid1(VALU_DEP_4)
	v_add_f64 v[22:23], v[22:23], v[2:3]
	v_mul_f64 v[2:3], v[132:133], s[34:35]
	v_add_f64 v[26:27], v[6:7], v[0:1]
	v_mul_f64 v[0:1], v[110:111], s[16:17]
	v_mul_f64 v[6:7], v[86:87], s[16:17]
	s_delay_alu instid0(VALU_DEP_4) | instskip(SKIP_1) | instid1(VALU_DEP_4)
	v_fma_f64 v[186:187], v[116:117], s[40:41], v[2:3]
	v_fma_f64 v[2:3], v[116:117], s[40:41], -v[2:3]
	v_add_f64 v[0:1], v[158:159], v[0:1]
	s_delay_alu instid0(VALU_DEP_4)
	v_add_f64 v[6:7], v[6:7], -v[152:153]
	v_mul_f64 v[152:153], v[134:135], s[38:39]
	v_mul_f64 v[158:159], v[106:107], s[44:45]
	v_add_f64 v[20:21], v[186:187], v[20:21]
	v_add_f64 v[24:25], v[2:3], v[4:5]
	v_mul_f64 v[4:5], v[94:95], s[10:11]
	v_mul_f64 v[2:3], v[100:101], s[28:29]
	;; [unrolled: 1-line block ×3, first 2 shown]
	s_delay_alu instid0(VALU_DEP_3) | instskip(NEXT) | instid1(VALU_DEP_3)
	v_add_f64 v[4:5], v[138:139], v[4:5]
	v_add_f64 v[2:3], v[148:149], v[2:3]
	v_mul_f64 v[138:139], v[106:107], s[48:49]
	v_mul_f64 v[148:149], v[128:129], s[16:17]
	s_delay_alu instid0(VALU_DEP_4) | instskip(SKIP_3) | instid1(VALU_DEP_4)
	v_add_f64 v[4:5], v[4:5], v[28:29]
	v_add_f64 v[28:29], v[38:39], v[30:31]
	v_mul_f64 v[30:31], v[102:103], s[22:23]
	v_mul_f64 v[38:39], v[78:79], s[16:17]
	v_add_f64 v[2:3], v[2:3], v[4:5]
	s_delay_alu instid0(VALU_DEP_4) | instskip(NEXT) | instid1(VALU_DEP_4)
	v_add_f64 v[4:5], v[36:37], v[28:29]
	v_add_f64 v[30:31], v[30:31], -v[182:183]
	v_mul_f64 v[28:29], v[128:129], s[38:39]
	v_add_f64 v[38:39], v[38:39], -v[126:127]
	v_mul_f64 v[126:127], v[100:101], s[30:31]
	v_mul_f64 v[182:183], v[100:101], s[10:11]
	v_add_f64 v[0:1], v[0:1], v[2:3]
	v_add_f64 v[2:3], v[6:7], v[4:5]
	v_mul_f64 v[4:5], v[108:109], s[38:39]
	v_add_f64 v[28:29], v[198:199], v[28:29]
	v_mul_f64 v[6:7], v[134:135], s[30:31]
	v_mul_f64 v[198:199], v[128:129], s[6:7]
	v_add_f64 v[0:1], v[40:41], v[0:1]
	v_add_f64 v[2:3], v[50:51], v[2:3]
	v_add_f64 v[4:5], v[4:5], -v[196:197]
	v_mul_f64 v[40:41], v[118:119], s[38:39]
	v_add_f64 v[6:7], v[202:203], v[6:7]
	v_mul_f64 v[50:51], v[92:93], s[38:39]
	v_mul_f64 v[196:197], v[120:121], s[50:51]
	;; [unrolled: 1-line block ×3, first 2 shown]
	v_add_f64 v[0:1], v[52:53], v[0:1]
	v_add_f64 v[2:3], v[30:31], v[2:3]
	v_mul_f64 v[30:31], v[116:117], s[30:31]
	v_add_f64 v[40:41], v[156:157], v[40:41]
	v_mul_f64 v[52:53], v[122:123], s[40:41]
	v_add_f64 v[50:51], v[50:51], -v[154:155]
	v_mul_f64 v[154:155], v[96:97], s[48:49]
	v_mul_f64 v[156:157], v[110:111], s[6:7]
	v_add_f64 v[0:1], v[28:29], v[0:1]
	v_add_f64 v[2:3], v[4:5], v[2:3]
	v_add_f64 v[36:37], v[30:31], -v[200:201]
	v_mul_f64 v[4:5], v[94:95], s[16:17]
	v_add_f64 v[52:53], v[170:171], v[52:53]
	v_mul_f64 v[170:171], v[122:123], s[38:39]
	v_mul_f64 v[200:201], v[124:125], s[0:1]
	v_add_f64 v[30:31], v[6:7], v[0:1]
	v_mul_f64 v[0:1], v[110:111], s[30:31]
	v_add_f64 v[28:29], v[36:37], v[2:3]
	;; [unrolled: 2-line block ×3, first 2 shown]
	v_mul_f64 v[36:37], v[82:83], s[22:23]
	v_mul_f64 v[6:7], v[86:87], s[30:31]
	;; [unrolled: 1-line block ×3, first 2 shown]
	v_add_f64 v[0:1], v[150:151], v[0:1]
	v_mul_f64 v[150:151], v[124:125], s[20:21]
	v_add_f64 v[2:3], v[142:143], v[2:3]
	v_add_f64 v[4:5], v[4:5], v[32:33]
	v_add_f64 v[36:37], v[36:37], -v[140:141]
	v_add_f64 v[32:33], v[38:39], v[34:35]
	v_add_f64 v[6:7], v[6:7], -v[146:147]
	v_mul_f64 v[34:35], v[102:103], s[40:41]
	v_mul_f64 v[140:141], v[118:119], s[10:11]
	;; [unrolled: 1-line block ×4, first 2 shown]
	v_add_f64 v[2:3], v[2:3], v[4:5]
	v_add_f64 v[4:5], v[36:37], v[32:33]
	v_mul_f64 v[32:33], v[128:129], s[28:29]
	v_add_f64 v[34:35], v[34:35], -v[164:165]
	v_mul_f64 v[164:165], v[118:119], s[28:29]
	v_add_f64 v[0:1], v[0:1], v[2:3]
	v_add_f64 v[2:3], v[6:7], v[4:5]
	;; [unrolled: 1-line block ×3, first 2 shown]
	v_mul_f64 v[4:5], v[108:109], s[28:29]
	v_mul_f64 v[6:7], v[134:135], s[6:7]
	;; [unrolled: 1-line block ×3, first 2 shown]
	v_add_f64 v[0:1], v[40:41], v[0:1]
	v_add_f64 v[2:3], v[50:51], v[2:3]
	v_add_f64 v[4:5], v[4:5], -v[178:179]
	v_add_f64 v[6:7], v[194:195], v[6:7]
	v_mul_f64 v[178:179], v[134:135], s[10:11]
	v_mul_f64 v[194:195], v[122:123], s[16:17]
	v_add_f64 v[0:1], v[52:53], v[0:1]
	v_mul_f64 v[52:53], v[94:95], s[40:41]
	v_add_f64 v[2:3], v[34:35], v[2:3]
	v_mul_f64 v[34:35], v[116:117], s[6:7]
	s_delay_alu instid0(VALU_DEP_4) | instskip(NEXT) | instid1(VALU_DEP_3)
	v_add_f64 v[0:1], v[32:33], v[0:1]
	v_add_f64 v[2:3], v[4:5], v[2:3]
	s_delay_alu instid0(VALU_DEP_3)
	v_add_f64 v[36:37], v[34:35], -v[190:191]
	v_mul_f64 v[4:5], v[90:91], s[18:19]
	v_mul_f64 v[190:191], v[118:119], s[30:31]
	v_add_f64 v[34:35], v[6:7], v[0:1]
	v_mul_f64 v[0:1], v[94:95], s[22:23]
	v_add_f64 v[32:33], v[36:37], v[2:3]
	v_fma_f64 v[6:7], v[78:79], s[22:23], -v[4:5]
	v_fma_f64 v[36:37], v[80:81], s[54:55], v[126:127]
	v_fma_f64 v[4:5], v[78:79], s[22:23], v[4:5]
	;; [unrolled: 1-line block ×4, first 2 shown]
	v_add_f64 v[6:7], v[6:7], v[48:49]
	s_delay_alu instid0(VALU_DEP_4) | instskip(NEXT) | instid1(VALU_DEP_4)
	v_add_f64 v[4:5], v[4:5], v[166:167]
	v_add_f64 v[2:3], v[2:3], v[58:59]
	v_mul_f64 v[58:59], v[94:95], s[38:39]
	v_add_f64 v[0:1], v[0:1], v[162:163]
	s_delay_alu instid0(VALU_DEP_3) | instskip(SKIP_1) | instid1(VALU_DEP_1)
	v_add_f64 v[2:3], v[36:37], v[2:3]
	v_fma_f64 v[36:37], v[82:83], s[30:31], -v[130:131]
	v_add_f64 v[6:7], v[36:37], v[6:7]
	v_fma_f64 v[36:37], v[84:85], s[48:49], v[136:137]
	s_delay_alu instid0(VALU_DEP_1) | instskip(SKIP_1) | instid1(VALU_DEP_1)
	v_add_f64 v[2:3], v[36:37], v[2:3]
	v_fma_f64 v[36:37], v[86:87], s[40:41], -v[138:139]
	v_add_f64 v[6:7], v[36:37], v[6:7]
	v_fma_f64 v[36:37], v[88:89], s[56:57], v[140:141]
	s_delay_alu instid0(VALU_DEP_1) | instskip(SKIP_1) | instid1(VALU_DEP_1)
	;; [unrolled: 5-line block ×5, first 2 shown]
	v_add_f64 v[38:39], v[36:37], v[2:3]
	v_mul_f64 v[2:3], v[132:133], s[46:47]
	v_fma_f64 v[36:37], v[116:117], s[38:39], -v[2:3]
	v_fma_f64 v[2:3], v[116:117], s[38:39], v[2:3]
	s_delay_alu instid0(VALU_DEP_2) | instskip(SKIP_1) | instid1(VALU_DEP_1)
	v_add_f64 v[36:37], v[36:37], v[6:7]
	v_mul_f64 v[6:7], v[94:95], s[30:31]
	v_fma_f64 v[40:41], v[76:77], s[24:25], v[6:7]
	v_fma_f64 v[6:7], v[76:77], s[54:55], v[6:7]
	s_delay_alu instid0(VALU_DEP_2) | instskip(SKIP_1) | instid1(VALU_DEP_3)
	v_add_f64 v[40:41], v[40:41], v[42:43]
	v_fma_f64 v[42:43], v[78:79], s[30:31], -v[60:61]
	v_add_f64 v[6:7], v[6:7], v[74:75]
	v_fma_f64 v[60:61], v[78:79], s[30:31], v[60:61]
	s_delay_alu instid0(VALU_DEP_3) | instskip(SKIP_2) | instid1(VALU_DEP_4)
	v_add_f64 v[42:43], v[42:43], v[46:47]
	v_fma_f64 v[46:47], v[80:81], s[48:49], v[62:63]
	v_fma_f64 v[62:63], v[80:81], s[34:35], v[62:63]
	v_add_f64 v[60:61], v[60:61], v[160:161]
	s_delay_alu instid0(VALU_DEP_3) | instskip(SKIP_1) | instid1(VALU_DEP_4)
	v_add_f64 v[40:41], v[46:47], v[40:41]
	v_fma_f64 v[46:47], v[82:83], s[40:41], -v[154:155]
	v_add_f64 v[6:7], v[62:63], v[6:7]
	v_fma_f64 v[62:63], v[82:83], s[40:41], v[154:155]
	s_delay_alu instid0(VALU_DEP_3) | instskip(SKIP_1) | instid1(VALU_DEP_3)
	v_add_f64 v[42:43], v[46:47], v[42:43]
	v_fma_f64 v[46:47], v[84:85], s[44:45], v[156:157]
	v_add_f64 v[60:61], v[62:63], v[60:61]
	v_fma_f64 v[62:63], v[84:85], s[0:1], v[156:157]
	s_delay_alu instid0(VALU_DEP_3) | instskip(SKIP_1) | instid1(VALU_DEP_3)
	v_add_f64 v[40:41], v[46:47], v[40:41]
	v_fma_f64 v[46:47], v[86:87], s[6:7], -v[158:159]
	v_add_f64 v[6:7], v[62:63], v[6:7]
	v_fma_f64 v[62:63], v[86:87], s[6:7], v[158:159]
	s_delay_alu instid0(VALU_DEP_3) | instskip(SKIP_1) | instid1(VALU_DEP_3)
	v_add_f64 v[42:43], v[46:47], v[42:43]
	v_fma_f64 v[46:47], v[88:89], s[26:27], v[164:165]
	v_add_f64 v[60:61], v[62:63], v[60:61]
	v_fma_f64 v[62:63], v[88:89], s[42:43], v[164:165]
	s_delay_alu instid0(VALU_DEP_3) | instskip(SKIP_1) | instid1(VALU_DEP_3)
	;; [unrolled: 10-line block ×5, first 2 shown]
	v_add_f64 v[42:43], v[42:43], v[40:41]
	v_fma_f64 v[40:41], v[116:117], s[10:11], -v[180:181]
	v_add_f64 v[62:63], v[62:63], v[6:7]
	v_fma_f64 v[6:7], v[80:81], s[24:25], v[126:127]
	s_delay_alu instid0(VALU_DEP_3) | instskip(SKIP_2) | instid1(VALU_DEP_4)
	v_add_f64 v[40:41], v[40:41], v[46:47]
	v_fma_f64 v[46:47], v[76:77], s[36:37], v[58:59]
	v_fma_f64 v[58:59], v[76:77], s[46:47], v[58:59]
	v_add_f64 v[0:1], v[6:7], v[0:1]
	v_fma_f64 v[6:7], v[86:87], s[40:41], v[138:139]
	s_delay_alu instid0(VALU_DEP_4) | instskip(SKIP_2) | instid1(VALU_DEP_2)
	v_add_f64 v[46:47], v[46:47], v[72:73]
	v_mul_f64 v[72:73], v[90:91], s[36:37]
	v_add_f64 v[58:59], v[58:59], v[70:71]
	v_fma_f64 v[48:49], v[78:79], s[38:39], -v[72:73]
	s_delay_alu instid0(VALU_DEP_1) | instskip(SKIP_1) | instid1(VALU_DEP_1)
	v_add_f64 v[44:45], v[48:49], v[44:45]
	v_fma_f64 v[48:49], v[80:81], s[56:57], v[182:183]
	v_add_f64 v[46:47], v[48:49], v[46:47]
	v_fma_f64 v[48:49], v[82:83], s[10:11], -v[184:185]
	s_delay_alu instid0(VALU_DEP_1) | instskip(SKIP_1) | instid1(VALU_DEP_1)
	v_add_f64 v[44:45], v[48:49], v[44:45]
	v_fma_f64 v[48:49], v[84:85], s[26:27], v[186:187]
	;; [unrolled: 5-line block ×6, first 2 shown]
	v_add_f64 v[46:47], v[48:49], v[46:47]
	v_fma_f64 v[48:49], v[116:117], s[22:23], -v[205:206]
	s_delay_alu instid0(VALU_DEP_1) | instskip(SKIP_2) | instid1(VALU_DEP_2)
	v_add_f64 v[44:45], v[48:49], v[44:45]
	v_fma_f64 v[48:49], v[76:77], s[48:49], v[52:53]
	v_fma_f64 v[52:53], v[76:77], s[34:35], v[52:53]
	v_add_f64 v[48:49], v[48:49], v[66:67]
	v_mul_f64 v[66:67], v[90:91], s[48:49]
	s_delay_alu instid0(VALU_DEP_3) | instskip(NEXT) | instid1(VALU_DEP_2)
	v_add_f64 v[52:53], v[52:53], v[64:65]
	v_fma_f64 v[50:51], v[78:79], s[40:41], -v[66:67]
	v_fma_f64 v[64:65], v[78:79], s[40:41], v[66:67]
	s_delay_alu instid0(VALU_DEP_2) | instskip(SKIP_1) | instid1(VALU_DEP_3)
	v_add_f64 v[50:51], v[50:51], v[68:69]
	v_mul_f64 v[68:69], v[100:101], s[6:7]
	v_add_f64 v[54:55], v[64:65], v[54:55]
	s_delay_alu instid0(VALU_DEP_2) | instskip(SKIP_1) | instid1(VALU_DEP_2)
	v_fma_f64 v[90:91], v[80:81], s[0:1], v[68:69]
	v_fma_f64 v[64:65], v[80:81], s[44:45], v[68:69]
	v_add_f64 v[48:49], v[90:91], v[48:49]
	v_mul_f64 v[90:91], v[96:97], s[0:1]
	s_delay_alu instid0(VALU_DEP_3) | instskip(NEXT) | instid1(VALU_DEP_2)
	v_add_f64 v[52:53], v[64:65], v[52:53]
	v_fma_f64 v[94:95], v[82:83], s[6:7], -v[90:91]
	v_fma_f64 v[64:65], v[82:83], s[6:7], v[90:91]
	s_delay_alu instid0(VALU_DEP_2) | instskip(SKIP_1) | instid1(VALU_DEP_3)
	v_add_f64 v[50:51], v[94:95], v[50:51]
	v_mul_f64 v[94:95], v[110:111], s[38:39]
	v_add_f64 v[54:55], v[64:65], v[54:55]
	s_delay_alu instid0(VALU_DEP_2) | instskip(SKIP_1) | instid1(VALU_DEP_2)
	;; [unrolled: 13-line block ×4, first 2 shown]
	v_fma_f64 v[114:115], v[98:99], s[8:9], v[110:111]
	v_fma_f64 v[64:65], v[98:99], s[56:57], v[110:111]
	v_add_f64 v[48:49], v[114:115], v[48:49]
	v_mul_f64 v[114:115], v[120:121], s[8:9]
	s_delay_alu instid0(VALU_DEP_3) | instskip(NEXT) | instid1(VALU_DEP_2)
	v_add_f64 v[52:53], v[64:65], v[52:53]
	v_fma_f64 v[118:119], v[102:103], s[10:11], -v[114:115]
	v_fma_f64 v[64:65], v[102:103], s[10:11], v[114:115]
	s_delay_alu instid0(VALU_DEP_2) | instskip(SKIP_1) | instid1(VALU_DEP_3)
	v_add_f64 v[50:51], v[118:119], v[50:51]
	v_mul_f64 v[118:119], v[128:129], s[30:31]
	v_add_f64 v[54:55], v[64:65], v[54:55]
	v_mul_f64 v[128:129], v[132:133], s[42:43]
	s_delay_alu instid0(VALU_DEP_3) | instskip(SKIP_1) | instid1(VALU_DEP_3)
	v_fma_f64 v[120:121], v[104:105], s[24:25], v[118:119]
	v_fma_f64 v[64:65], v[104:105], s[54:55], v[118:119]
	;; [unrolled: 1-line block ×3, first 2 shown]
	s_delay_alu instid0(VALU_DEP_3) | instskip(SKIP_3) | instid1(VALU_DEP_3)
	v_add_f64 v[48:49], v[120:121], v[48:49]
	v_mul_f64 v[120:121], v[124:125], s[24:25]
	v_mul_f64 v[124:125], v[134:135], s[28:29]
	v_add_f64 v[52:53], v[64:65], v[52:53]
	v_fma_f64 v[64:65], v[108:109], s[30:31], v[120:121]
	v_fma_f64 v[122:123], v[108:109], s[30:31], -v[120:121]
	s_delay_alu instid0(VALU_DEP_2) | instskip(SKIP_1) | instid1(VALU_DEP_3)
	v_add_f64 v[64:65], v[64:65], v[54:55]
	v_fma_f64 v[54:55], v[112:113], s[26:27], v[124:125]
	v_add_f64 v[122:123], v[122:123], v[50:51]
	v_fma_f64 v[50:51], v[112:113], s[42:43], v[124:125]
	s_delay_alu instid0(VALU_DEP_3)
	v_add_f64 v[54:55], v[54:55], v[52:53]
	v_add_f64 v[52:53], v[66:67], v[64:65]
	v_fma_f64 v[64:65], v[78:79], s[38:39], v[72:73]
	v_fma_f64 v[66:67], v[116:117], s[22:23], v[205:206]
	v_add_f64 v[50:51], v[50:51], v[48:49]
	v_fma_f64 v[48:49], v[116:117], s[28:29], -v[128:129]
	s_delay_alu instid0(VALU_DEP_4) | instskip(SKIP_1) | instid1(VALU_DEP_3)
	v_add_f64 v[56:57], v[64:65], v[56:57]
	v_fma_f64 v[64:65], v[80:81], s[8:9], v[182:183]
	v_add_f64 v[48:49], v[48:49], v[122:123]
	s_delay_alu instid0(VALU_DEP_2) | instskip(SKIP_1) | instid1(VALU_DEP_1)
	v_add_f64 v[58:59], v[64:65], v[58:59]
	v_fma_f64 v[64:65], v[82:83], s[10:11], v[184:185]
	v_add_f64 v[56:57], v[64:65], v[56:57]
	v_fma_f64 v[64:65], v[84:85], s[42:43], v[186:187]
	s_delay_alu instid0(VALU_DEP_1) | instskip(SKIP_1) | instid1(VALU_DEP_1)
	v_add_f64 v[58:59], v[64:65], v[58:59]
	v_fma_f64 v[64:65], v[86:87], s[28:29], v[188:189]
	v_add_f64 v[56:57], v[64:65], v[56:57]
	v_fma_f64 v[64:65], v[88:89], s[54:55], v[190:191]
	s_delay_alu instid0(VALU_DEP_1) | instskip(SKIP_1) | instid1(VALU_DEP_1)
	;; [unrolled: 5-line block ×4, first 2 shown]
	v_add_f64 v[58:59], v[64:65], v[58:59]
	v_fma_f64 v[64:65], v[108:109], s[6:7], v[200:201]
	v_add_f64 v[56:57], v[64:65], v[56:57]
	v_fma_f64 v[64:65], v[112:113], s[52:53], v[202:203]
	s_delay_alu instid0(VALU_DEP_2) | instskip(NEXT) | instid1(VALU_DEP_2)
	v_add_f64 v[56:57], v[66:67], v[56:57]
	v_add_f64 v[58:59], v[64:65], v[58:59]
	v_fma_f64 v[64:65], v[116:117], s[10:11], v[180:181]
	v_fma_f64 v[66:67], v[84:85], s[34:35], v[136:137]
	s_delay_alu instid0(VALU_DEP_2) | instskip(SKIP_1) | instid1(VALU_DEP_3)
	v_add_f64 v[60:61], v[64:65], v[60:61]
	v_fma_f64 v[64:65], v[82:83], s[30:31], v[130:131]
	v_add_f64 v[0:1], v[66:67], v[0:1]
	v_fma_f64 v[66:67], v[92:93], s[10:11], v[142:143]
	s_delay_alu instid0(VALU_DEP_3) | instskip(SKIP_1) | instid1(VALU_DEP_2)
	v_add_f64 v[4:5], v[64:65], v[4:5]
	v_fma_f64 v[64:65], v[88:89], s[8:9], v[140:141]
	v_add_f64 v[4:5], v[6:7], v[4:5]
	v_fma_f64 v[6:7], v[98:99], s[44:45], v[144:145]
	s_delay_alu instid0(VALU_DEP_3) | instskip(SKIP_1) | instid1(VALU_DEP_4)
	v_add_f64 v[0:1], v[64:65], v[0:1]
	v_fma_f64 v[64:65], v[102:103], s[6:7], v[146:147]
	v_add_f64 v[4:5], v[66:67], v[4:5]
	v_fma_f64 v[66:67], v[104:105], s[50:51], v[148:149]
	s_delay_alu instid0(VALU_DEP_4) | instskip(SKIP_1) | instid1(VALU_DEP_4)
	v_add_f64 v[0:1], v[6:7], v[0:1]
	v_fma_f64 v[6:7], v[108:109], s[16:17], v[150:151]
	v_add_f64 v[4:5], v[64:65], v[4:5]
	v_fma_f64 v[64:65], v[112:113], s[36:37], v[152:153]
	s_delay_alu instid0(VALU_DEP_4) | instskip(NEXT) | instid1(VALU_DEP_3)
	v_add_f64 v[0:1], v[66:67], v[0:1]
	v_add_f64 v[4:5], v[6:7], v[4:5]
	s_delay_alu instid0(VALU_DEP_2) | instskip(SKIP_1) | instid1(VALU_DEP_1)
	v_add_f64 v[66:67], v[64:65], v[0:1]
	v_mul_lo_u16 v0, v218, 17
	v_and_b32_e32 v0, 0xffff, v0
	s_delay_alu instid0(VALU_DEP_1)
	v_add_lshl_u32 v0, v204, v0, 4
	v_add_f64 v[64:65], v[2:3], v[4:5]
	ds_store_b128 v0, v[12:15]
	ds_store_b128 v0, v[28:31] offset:16
	ds_store_b128 v0, v[32:35] offset:32
	;; [unrolled: 1-line block ×16, first 2 shown]
.LBB0_7:
	s_or_b32 exec_lo, exec_lo, s33
	v_and_b32_e32 v0, 0xff, v218
	v_add_co_u32 v112, null, 0x55, v218
	s_load_b128 s[4:7], s[4:5], 0x0
	s_waitcnt lgkmcnt(0)
	s_delay_alu instid0(VALU_DEP_2)
	v_mul_lo_u16 v0, 0xf1, v0
	s_barrier
	buffer_gl0_inv
	v_and_b32_e32 v68, 0xff, v112
	v_add_co_u32 v128, null, 0xaa, v218
	v_lshrrev_b16 v56, 12, v0
	v_add_lshl_u32 v220, v204, v218, 4
	s_mov_b32 s0, 0xe8584caa
	s_delay_alu instid0(VALU_DEP_3)
	v_and_b32_e32 v86, 0xff, v128
	s_mov_b32 s1, 0x3febb67a
	v_mul_lo_u16 v0, v56, 17
	s_mov_b32 s9, 0xbfebb67a
	s_mov_b32 s8, s0
	;; [unrolled: 1-line block ×4, first 2 shown]
	v_sub_nc_u16 v0, v218, v0
	s_mov_b32 s19, 0xbfee6f0e
	s_mov_b32 s18, s16
	;; [unrolled: 1-line block ×4, first 2 shown]
	v_and_b32_e32 v57, 0xff, v0
	s_mov_b32 s21, 0x3fd3c6ef
	v_lshl_add_u32 v225, v218, 4, v254
	v_lshl_add_u32 v226, v218, 4, v254
	s_delay_alu instid0(VALU_DEP_3) | instskip(SKIP_4) | instid1(VALU_DEP_1)
	v_lshlrev_b32_e32 v0, 5, v57
	s_clause 0x1
	global_load_b128 v[8:11], v0, s[2:3]
	global_load_b128 v[12:15], v0, s[2:3] offset:16
	v_mul_lo_u16 v0, 0xf1, v68
	v_lshrrev_b16 v58, 12, v0
	s_delay_alu instid0(VALU_DEP_1) | instskip(NEXT) | instid1(VALU_DEP_1)
	v_mul_lo_u16 v0, v58, 17
	v_sub_nc_u16 v0, v112, v0
	s_delay_alu instid0(VALU_DEP_1) | instskip(NEXT) | instid1(VALU_DEP_1)
	v_and_b32_e32 v59, 0xff, v0
	v_lshlrev_b32_e32 v0, 5, v59
	s_clause 0x1
	global_load_b128 v[16:19], v0, s[2:3]
	global_load_b128 v[20:23], v0, s[2:3] offset:16
	v_mul_lo_u16 v0, 0xf1, v86
	s_delay_alu instid0(VALU_DEP_1) | instskip(NEXT) | instid1(VALU_DEP_1)
	v_lshrrev_b16 v60, 12, v0
	v_mul_lo_u16 v0, v60, 17
	s_delay_alu instid0(VALU_DEP_1) | instskip(NEXT) | instid1(VALU_DEP_1)
	v_sub_nc_u16 v0, v128, v0
	v_and_b32_e32 v61, 0xff, v0
	s_delay_alu instid0(VALU_DEP_1)
	v_lshlrev_b32_e32 v0, 5, v61
	s_clause 0x1
	global_load_b128 v[24:27], v0, s[2:3]
	global_load_b128 v[28:31], v0, s[2:3] offset:16
	ds_load_b128 v[36:39], v220 offset:6800
	ds_load_b128 v[32:35], v220 offset:13600
	;; [unrolled: 1-line block ×5, first 2 shown]
	s_waitcnt vmcnt(5) lgkmcnt(4)
	v_mul_f64 v[0:1], v[38:39], v[10:11]
	v_mul_f64 v[2:3], v[36:37], v[10:11]
	scratch_store_b128 off, v[8:11], off    ; 16-byte Folded Spill
	s_waitcnt vmcnt(4)
	scratch_store_b128 off, v[12:15], off offset:16 ; 16-byte Folded Spill
	s_waitcnt lgkmcnt(3)
	v_mul_f64 v[4:5], v[34:35], v[14:15]
	v_mul_f64 v[6:7], v[32:33], v[14:15]
	s_waitcnt vmcnt(3)
	scratch_store_b128 off, v[16:19], off offset:32 ; 16-byte Folded Spill
	s_waitcnt vmcnt(2)
	scratch_store_b128 off, v[20:23], off offset:48 ; 16-byte Folded Spill
	s_waitcnt lgkmcnt(0)
	v_mul_f64 v[14:15], v[40:41], v[22:23]
	v_fma_f64 v[0:1], v[36:37], v[8:9], -v[0:1]
	v_fma_f64 v[2:3], v[38:39], v[8:9], v[2:3]
	ds_load_b128 v[36:39], v220 offset:9520
	v_mul_f64 v[8:9], v[46:47], v[18:19]
	v_mul_f64 v[10:11], v[44:45], v[18:19]
	v_fma_f64 v[4:5], v[32:33], v[12:13], -v[4:5]
	v_fma_f64 v[6:7], v[34:35], v[12:13], v[6:7]
	v_mul_f64 v[12:13], v[42:43], v[22:23]
	s_waitcnt vmcnt(1) lgkmcnt(0)
	v_mul_f64 v[18:19], v[36:37], v[26:27]
	scratch_store_b128 off, v[24:27], off offset:64 ; 16-byte Folded Spill
	v_fma_f64 v[14:15], v[42:43], v[20:21], v[14:15]
	v_fma_f64 v[8:9], v[44:45], v[16:17], -v[8:9]
	v_fma_f64 v[10:11], v[46:47], v[16:17], v[10:11]
	v_mul_f64 v[16:17], v[38:39], v[26:27]
	v_fma_f64 v[12:13], v[40:41], v[20:21], -v[12:13]
	v_fma_f64 v[18:19], v[38:39], v[24:25], v[18:19]
	s_delay_alu instid0(VALU_DEP_3)
	v_fma_f64 v[16:17], v[36:37], v[24:25], -v[16:17]
	ds_load_b128 v[32:35], v220 offset:16320
	ds_load_b128 v[36:39], v220 offset:17680
	v_add_co_u32 v24, null, 0xff, v218
	s_waitcnt vmcnt(0)
	scratch_store_b128 off, v[28:31], off offset:80 ; 16-byte Folded Spill
	v_and_b32_e32 v25, 0xffff, v24
	s_delay_alu instid0(VALU_DEP_1) | instskip(NEXT) | instid1(VALU_DEP_1)
	v_mul_u32_u24_e32 v25, 0xf0f1, v25
	v_lshrrev_b32_e32 v40, 20, v25
	s_waitcnt lgkmcnt(1)
	v_mul_f64 v[20:21], v[34:35], v[30:31]
	v_mul_f64 v[22:23], v[32:33], v[30:31]
	s_delay_alu instid0(VALU_DEP_3) | instskip(NEXT) | instid1(VALU_DEP_1)
	v_mul_lo_u16 v25, v40, 17
	v_sub_nc_u16 v41, v24, v25
	s_delay_alu instid0(VALU_DEP_1) | instskip(NEXT) | instid1(VALU_DEP_1)
	v_lshlrev_b16 v24, 1, v41
	v_and_b32_e32 v24, 0xffff, v24
	s_delay_alu instid0(VALU_DEP_1)
	v_lshlrev_b32_e32 v24, 4, v24
	v_fma_f64 v[20:21], v[32:33], v[28:29], -v[20:21]
	v_fma_f64 v[22:23], v[34:35], v[28:29], v[22:23]
	s_clause 0x1
	global_load_b128 v[28:31], v24, s[2:3]
	global_load_b128 v[42:45], v24, s[2:3] offset:16
	ds_load_b128 v[32:35], v220 offset:10880
	ds_load_b128 v[69:72], v220 offset:12240
	s_waitcnt vmcnt(1) lgkmcnt(1)
	v_mul_f64 v[24:25], v[34:35], v[30:31]
	v_mul_f64 v[26:27], v[32:33], v[30:31]
	scratch_store_b128 off, v[28:31], off offset:160 ; 16-byte Folded Spill
	s_waitcnt vmcnt(0)
	scratch_store_b128 off, v[42:45], off offset:144 ; 16-byte Folded Spill
	v_mul_f64 v[30:31], v[36:37], v[44:45]
	v_fma_f64 v[24:25], v[32:33], v[28:29], -v[24:25]
	v_fma_f64 v[26:27], v[34:35], v[28:29], v[26:27]
	v_mul_f64 v[28:29], v[38:39], v[44:45]
	v_add_co_u32 v32, null, 0x154, v218
	v_fma_f64 v[30:31], v[38:39], v[42:43], v[30:31]
	s_delay_alu instid0(VALU_DEP_2) | instskip(NEXT) | instid1(VALU_DEP_1)
	v_and_b32_e32 v33, 0xffff, v32
	v_mul_u32_u24_e32 v33, 0xf0f1, v33
	v_fma_f64 v[28:29], v[36:37], v[42:43], -v[28:29]
	s_delay_alu instid0(VALU_DEP_2) | instskip(NEXT) | instid1(VALU_DEP_1)
	v_lshrrev_b32_e32 v42, 20, v33
	v_mul_lo_u16 v33, v42, 17
	s_delay_alu instid0(VALU_DEP_1) | instskip(NEXT) | instid1(VALU_DEP_1)
	v_sub_nc_u16 v43, v32, v33
	v_lshlrev_b16 v32, 1, v43
	s_delay_alu instid0(VALU_DEP_1) | instskip(NEXT) | instid1(VALU_DEP_1)
	v_and_b32_e32 v32, 0xffff, v32
	v_lshlrev_b32_e32 v32, 4, v32
	s_clause 0x1
	global_load_b128 v[34:37], v32, s[2:3]
	global_load_b128 v[44:47], v32, s[2:3] offset:16
	s_waitcnt vmcnt(1) lgkmcnt(0)
	v_mul_f64 v[32:33], v[71:72], v[36:37]
	scratch_store_b128 off, v[34:37], off offset:192 ; 16-byte Folded Spill
	s_waitcnt vmcnt(0)
	scratch_store_b128 off, v[44:47], off offset:176 ; 16-byte Folded Spill
	v_fma_f64 v[66:67], v[69:70], v[34:35], -v[32:33]
	v_mul_f64 v[32:33], v[69:70], v[36:37]
	v_add_f64 v[69:70], v[0:1], v[4:5]
	s_delay_alu instid0(VALU_DEP_2) | instskip(SKIP_3) | instid1(VALU_DEP_1)
	v_fma_f64 v[113:114], v[71:72], v[34:35], v[32:33]
	ds_load_b128 v[32:35], v220 offset:19040
	s_waitcnt lgkmcnt(0)
	v_mul_f64 v[36:37], v[34:35], v[46:47]
	v_fma_f64 v[115:116], v[32:33], v[44:45], -v[36:37]
	v_mul_f64 v[32:33], v[32:33], v[46:47]
	s_delay_alu instid0(VALU_DEP_1)
	v_fma_f64 v[117:118], v[34:35], v[44:45], v[32:33]
	ds_load_b128 v[32:35], v220
	ds_load_b128 v[36:39], v220 offset:1360
	ds_load_b128 v[87:90], v220 offset:2720
	;; [unrolled: 1-line block ×3, first 2 shown]
	s_waitcnt lgkmcnt(0)
	s_waitcnt_vscnt null, 0x0
	s_barrier
	buffer_gl0_inv
	v_fma_f64 v[71:72], v[69:70], -0.5, v[32:33]
	v_add_f64 v[69:70], v[2:3], v[6:7]
	v_add_f64 v[32:33], v[32:33], v[0:1]
	v_add_f64 v[0:1], v[0:1], -v[4:5]
	s_delay_alu instid0(VALU_DEP_3) | instskip(SKIP_4) | instid1(VALU_DEP_4)
	v_fma_f64 v[75:76], v[69:70], -0.5, v[34:35]
	v_add_f64 v[34:35], v[34:35], v[2:3]
	v_add_f64 v[2:3], v[2:3], -v[6:7]
	v_add_f64 v[32:33], v[32:33], v[4:5]
	v_add_f64 v[4:5], v[38:39], v[10:11]
	;; [unrolled: 1-line block ×3, first 2 shown]
	s_delay_alu instid0(VALU_DEP_4)
	v_fma_f64 v[69:70], v[2:3], s[0:1], v[71:72]
	v_fma_f64 v[73:74], v[2:3], s[8:9], v[71:72]
	;; [unrolled: 1-line block ×4, first 2 shown]
	v_add_f64 v[0:1], v[8:9], v[12:13]
	v_add_f64 v[2:3], v[10:11], v[14:15]
	v_add_f64 v[10:11], v[10:11], -v[14:15]
	v_add_f64 v[6:7], v[36:37], v[8:9]
	s_delay_alu instid0(VALU_DEP_4) | instskip(NEXT) | instid1(VALU_DEP_4)
	v_fma_f64 v[0:1], v[0:1], -0.5, v[36:37]
	v_fma_f64 v[2:3], v[2:3], -0.5, v[38:39]
	v_add_f64 v[38:39], v[4:5], v[14:15]
	v_add_f64 v[4:5], v[8:9], -v[12:13]
	v_add_f64 v[8:9], v[18:19], -v[22:23]
	v_add_f64 v[36:37], v[6:7], v[12:13]
	v_add_f64 v[6:7], v[87:88], v[16:17]
	v_fma_f64 v[77:78], v[10:11], s[0:1], v[0:1]
	v_fma_f64 v[81:82], v[10:11], s[8:9], v[0:1]
	v_add_f64 v[0:1], v[16:17], v[20:21]
	v_fma_f64 v[79:80], v[4:5], s[8:9], v[2:3]
	v_fma_f64 v[83:84], v[4:5], s[0:1], v[2:3]
	v_add_f64 v[2:3], v[18:19], v[22:23]
	v_add_f64 v[4:5], v[89:90], v[18:19]
	v_fma_f64 v[0:1], v[0:1], -0.5, v[87:88]
	v_add_f64 v[87:88], v[6:7], v[20:21]
	v_add_f64 v[6:7], v[91:92], v[24:25]
	v_fma_f64 v[2:3], v[2:3], -0.5, v[89:90]
	v_add_f64 v[89:90], v[4:5], v[22:23]
	v_add_f64 v[4:5], v[16:17], -v[20:21]
	v_fma_f64 v[95:96], v[8:9], s[0:1], v[0:1]
	v_fma_f64 v[99:100], v[8:9], s[8:9], v[0:1]
	v_add_f64 v[0:1], v[24:25], v[28:29]
	v_add_f64 v[8:9], v[26:27], -v[30:31]
	v_fma_f64 v[97:98], v[4:5], s[8:9], v[2:3]
	v_fma_f64 v[101:102], v[4:5], s[0:1], v[2:3]
	v_add_f64 v[2:3], v[26:27], v[30:31]
	v_add_f64 v[4:5], v[93:94], v[26:27]
	v_fma_f64 v[0:1], v[0:1], -0.5, v[91:92]
	v_add_f64 v[91:92], v[6:7], v[28:29]
	v_add_f64 v[6:7], v[62:63], v[66:67]
	v_fma_f64 v[2:3], v[2:3], -0.5, v[93:94]
	v_add_f64 v[93:94], v[4:5], v[30:31]
	v_add_f64 v[4:5], v[24:25], -v[28:29]
	v_fma_f64 v[103:104], v[8:9], s[0:1], v[0:1]
	v_fma_f64 v[107:108], v[8:9], s[8:9], v[0:1]
	v_add_f64 v[0:1], v[66:67], v[115:116]
	v_add_f64 v[8:9], v[113:114], -v[117:118]
	v_fma_f64 v[105:106], v[4:5], s[8:9], v[2:3]
	v_fma_f64 v[109:110], v[4:5], s[0:1], v[2:3]
	v_add_f64 v[2:3], v[113:114], v[117:118]
	v_add_f64 v[4:5], v[64:65], v[113:114]
	v_fma_f64 v[0:1], v[0:1], -0.5, v[62:63]
	v_add_f64 v[62:63], v[6:7], v[115:116]
	s_delay_alu instid0(VALU_DEP_4) | instskip(NEXT) | instid1(VALU_DEP_4)
	v_fma_f64 v[2:3], v[2:3], -0.5, v[64:65]
	v_add_f64 v[64:65], v[4:5], v[117:118]
	v_add_f64 v[4:5], v[66:67], -v[115:116]
	v_fma_f64 v[113:114], v[8:9], s[0:1], v[0:1]
	v_fma_f64 v[117:118], v[8:9], s[8:9], v[0:1]
	v_and_b32_e32 v0, 0xffff, v56
	s_delay_alu instid0(VALU_DEP_1) | instskip(SKIP_3) | instid1(VALU_DEP_4)
	v_mul_u32_u24_e32 v0, 51, v0
	v_fma_f64 v[115:116], v[4:5], s[8:9], v[2:3]
	v_fma_f64 v[119:120], v[4:5], s[0:1], v[2:3]
	v_add_co_u32 v1, s0, 0xffffffcd, v218
	v_add_nc_u32_e32 v0, v0, v57
	v_add_co_ci_u32_e64 v2, null, 0, -1, s0
	v_cmp_gt_u16_e64 s0, 51, v218
	s_mov_b32 s8, 0x4755a5e
	s_delay_alu instid0(VALU_DEP_3)
	v_add_lshl_u32 v0, v204, v0, 4
	ds_store_b128 v0, v[32:35]
	ds_store_b128 v0, v[69:72] offset:272
	scratch_store_b32 off, v0, off offset:140 ; 4-byte Folded Spill
	ds_store_b128 v0, v[73:76] offset:544
	v_and_b32_e32 v0, 0xffff, v58
	v_cndmask_b32_e64 v85, v2, 0, s0
	s_mov_b32 s9, 0x3fe2cf23
	s_mov_b32 s10, s8
	s_delay_alu instid0(VALU_DEP_2) | instskip(NEXT) | instid1(VALU_DEP_1)
	v_mul_u32_u24_e32 v0, 51, v0
	v_add_nc_u32_e32 v0, v0, v59
	s_delay_alu instid0(VALU_DEP_1)
	v_add_lshl_u32 v0, v204, v0, 4
	ds_store_b128 v0, v[36:39]
	ds_store_b128 v0, v[77:80] offset:272
	scratch_store_b32 off, v0, off offset:136 ; 4-byte Folded Spill
	ds_store_b128 v0, v[81:84] offset:544
	v_and_b32_e32 v0, 0xffff, v60
	v_cndmask_b32_e64 v84, v1, v218, s0
	s_delay_alu instid0(VALU_DEP_2) | instskip(NEXT) | instid1(VALU_DEP_1)
	v_mul_u32_u24_e32 v0, 51, v0
	v_add_nc_u32_e32 v0, v0, v61
	s_delay_alu instid0(VALU_DEP_1)
	v_add_lshl_u32 v0, v204, v0, 4
	ds_store_b128 v0, v[87:90]
	ds_store_b128 v0, v[95:98] offset:272
	scratch_store_b32 off, v0, off offset:132 ; 4-byte Folded Spill
	ds_store_b128 v0, v[99:102] offset:544
	v_mad_u16 v0, v40, 51, v41
	s_delay_alu instid0(VALU_DEP_1) | instskip(NEXT) | instid1(VALU_DEP_1)
	v_and_b32_e32 v0, 0xffff, v0
	v_add_lshl_u32 v219, v204, v0, 4
	v_mad_u16 v0, v42, 51, v43
	ds_store_b128 v219, v[91:94]
	ds_store_b128 v219, v[103:106] offset:272
	ds_store_b128 v219, v[107:110] offset:544
	v_and_b32_e32 v0, 0xffff, v0
	s_delay_alu instid0(VALU_DEP_1) | instskip(SKIP_4) | instid1(VALU_DEP_1)
	v_add_lshl_u32 v3, v204, v0, 4
	v_lshlrev_b64 v[0:1], 6, v[84:85]
	ds_store_b128 v3, v[62:65]
	ds_store_b128 v3, v[113:116] offset:272
	v_add_co_u32 v64, s0, s2, v0
	v_add_co_ci_u32_e64 v65, s0, s3, v1, s0
	scratch_store_b32 off, v3, off offset:128 ; 4-byte Folded Spill
	ds_store_b128 v3, v[117:120] offset:544
	s_waitcnt lgkmcnt(0)
	s_waitcnt_vscnt null, 0x0
	s_barrier
	buffer_gl0_inv
	s_clause 0x1
	global_load_b128 v[4:7], v[64:65], off offset:544
	global_load_b128 v[8:11], v[64:65], off offset:560
	ds_load_b128 v[56:59], v220 offset:4080
	ds_load_b128 v[104:107], v220 offset:2720
	v_cmp_lt_u16_e64 s0, 50, v218
	s_waitcnt vmcnt(1) lgkmcnt(1)
	v_mul_f64 v[0:1], v[58:59], v[6:7]
	v_mul_f64 v[2:3], v[56:57], v[6:7]
	scratch_store_b128 off, v[4:7], off offset:96 ; 16-byte Folded Spill
	v_fma_f64 v[0:1], v[56:57], v[4:5], -v[0:1]
	v_fma_f64 v[2:3], v[58:59], v[4:5], v[2:3]
	ds_load_b128 v[56:59], v220 offset:8160
	ds_load_b128 v[76:79], v220 offset:9520
	s_waitcnt vmcnt(0)
	scratch_store_b128 off, v[8:11], off offset:112 ; 16-byte Folded Spill
	s_clause 0x1
	global_load_b128 v[12:15], v[64:65], off offset:592
	global_load_b128 v[16:19], v[64:65], off offset:576
	s_waitcnt lgkmcnt(1)
	v_mul_f64 v[4:5], v[58:59], v[10:11]
	v_mul_f64 v[6:7], v[56:57], v[10:11]
	s_delay_alu instid0(VALU_DEP_2) | instskip(NEXT) | instid1(VALU_DEP_2)
	v_fma_f64 v[4:5], v[56:57], v[8:9], -v[4:5]
	v_fma_f64 v[6:7], v[58:59], v[8:9], v[6:7]
	ds_load_b128 v[56:59], v220 offset:16320
	ds_load_b128 v[87:90], v220 offset:17680
	s_waitcnt vmcnt(1) lgkmcnt(1)
	v_mul_f64 v[8:9], v[56:57], v[14:15]
	v_mul_f64 v[10:11], v[58:59], v[14:15]
	scratch_store_b128 off, v[12:15], off offset:224 ; 16-byte Folded Spill
	v_fma_f64 v[8:9], v[58:59], v[12:13], v[8:9]
	v_fma_f64 v[10:11], v[56:57], v[12:13], -v[10:11]
	ds_load_b128 v[56:59], v220 offset:12240
	ds_load_b128 v[96:99], v220 offset:10880
	s_waitcnt vmcnt(0)
	scratch_store_b128 off, v[16:19], off offset:240 ; 16-byte Folded Spill
	s_waitcnt lgkmcnt(1)
	v_mul_f64 v[12:13], v[58:59], v[18:19]
	v_mul_f64 v[14:15], v[56:57], v[18:19]
	v_add_f64 v[129:130], v[2:3], -v[8:9]
	v_add_f64 v[133:134], v[0:1], -v[10:11]
	s_delay_alu instid0(VALU_DEP_4) | instskip(NEXT) | instid1(VALU_DEP_4)
	v_fma_f64 v[12:13], v[56:57], v[16:17], -v[12:13]
	v_fma_f64 v[14:15], v[58:59], v[16:17], v[14:15]
	v_mul_lo_u16 v16, 0xa1, v68
	s_delay_alu instid0(VALU_DEP_1) | instskip(NEXT) | instid1(VALU_DEP_1)
	v_lshrrev_b16 v32, 13, v16
	v_mul_lo_u16 v16, v32, 51
	s_delay_alu instid0(VALU_DEP_1) | instskip(NEXT) | instid1(VALU_DEP_1)
	v_sub_nc_u16 v16, v112, v16
	v_and_b32_e32 v33, 0xff, v16
	s_delay_alu instid0(VALU_DEP_1)
	v_lshlrev_b32_e32 v24, 6, v33
	s_clause 0x1
	global_load_b128 v[20:23], v24, s[2:3] offset:544
	global_load_b128 v[25:28], v24, s[2:3] offset:560
	ds_load_b128 v[56:59], v220 offset:5440
	ds_load_b128 v[100:103], v220 offset:6800
	v_add_f64 v[113:114], v[4:5], v[12:13]
	v_add_f64 v[131:132], v[6:7], -v[14:15]
	v_add_f64 v[135:136], v[4:5], -v[12:13]
	s_waitcnt vmcnt(1) lgkmcnt(1)
	v_mul_f64 v[16:17], v[58:59], v[22:23]
	v_mul_f64 v[18:19], v[56:57], v[22:23]
	scratch_store_b128 off, v[20:23], off offset:272 ; 16-byte Folded Spill
	s_waitcnt vmcnt(0)
	scratch_store_b128 off, v[25:28], off offset:256 ; 16-byte Folded Spill
	v_mul_f64 v[22:23], v[76:77], v[27:28]
	v_fma_f64 v[16:17], v[56:57], v[20:21], -v[16:17]
	v_fma_f64 v[18:19], v[58:59], v[20:21], v[18:19]
	v_mul_f64 v[20:21], v[78:79], v[27:28]
	s_clause 0x1
	global_load_b128 v[28:31], v24, s[2:3] offset:576
	global_load_b128 v[34:37], v24, s[2:3] offset:592
	ds_load_b128 v[56:59], v220 offset:13600
	ds_load_b128 v[108:111], v220 offset:14960
	v_fma_f64 v[22:23], v[78:79], v[25:26], v[22:23]
	v_fma_f64 v[20:21], v[76:77], v[25:26], -v[20:21]
	s_waitcnt vmcnt(1) lgkmcnt(1)
	v_mul_f64 v[24:25], v[58:59], v[30:31]
	v_mul_f64 v[26:27], v[56:57], v[30:31]
	scratch_store_b128 off, v[28:31], off offset:304 ; 16-byte Folded Spill
	s_waitcnt vmcnt(0)
	scratch_store_b128 off, v[34:37], off offset:288 ; 16-byte Folded Spill
	v_mul_f64 v[30:31], v[87:88], v[36:37]
	v_fma_f64 v[24:25], v[56:57], v[28:29], -v[24:25]
	v_fma_f64 v[26:27], v[58:59], v[28:29], v[26:27]
	v_mul_f64 v[28:29], v[89:90], v[36:37]
	s_delay_alu instid0(VALU_DEP_4) | instskip(NEXT) | instid1(VALU_DEP_4)
	v_fma_f64 v[30:31], v[89:90], v[34:35], v[30:31]
	v_add_f64 v[141:142], v[20:21], -v[24:25]
	s_delay_alu instid0(VALU_DEP_3) | instskip(SKIP_1) | instid1(VALU_DEP_1)
	v_fma_f64 v[28:29], v[87:88], v[34:35], -v[28:29]
	v_mul_lo_u16 v34, 0xa1, v86
	v_lshrrev_b16 v34, 13, v34
	s_delay_alu instid0(VALU_DEP_1) | instskip(NEXT) | instid1(VALU_DEP_1)
	v_mul_lo_u16 v35, v34, 51
	v_sub_nc_u16 v35, v128, v35
	s_delay_alu instid0(VALU_DEP_1) | instskip(NEXT) | instid1(VALU_DEP_1)
	v_and_b32_e32 v35, 0xff, v35
	v_lshlrev_b32_e32 v36, 6, v35
	s_clause 0x1
	global_load_b128 v[41:44], v36, s[2:3] offset:544
	global_load_b128 v[37:40], v36, s[2:3] offset:560
	s_waitcnt vmcnt(1)
	v_mul_f64 v[56:57], v[102:103], v[43:44]
	scratch_store_b128 off, v[41:44], off offset:360 ; 16-byte Folded Spill
	s_waitcnt vmcnt(0)
	scratch_store_b128 off, v[37:40], off offset:340 ; 16-byte Folded Spill
	v_fma_f64 v[85:86], v[100:101], v[41:42], -v[56:57]
	v_mul_f64 v[56:57], v[100:101], v[43:44]
	s_delay_alu instid0(VALU_DEP_1) | instskip(SKIP_1) | instid1(VALU_DEP_1)
	v_fma_f64 v[125:126], v[102:103], v[41:42], v[56:57]
	v_mul_f64 v[56:57], v[98:99], v[39:40]
	v_fma_f64 v[157:158], v[96:97], v[37:38], -v[56:57]
	v_mul_f64 v[56:57], v[96:97], v[39:40]
	s_delay_alu instid0(VALU_DEP_1)
	v_fma_f64 v[159:160], v[98:99], v[37:38], v[56:57]
	s_clause 0x1
	global_load_b128 v[40:43], v36, s[2:3] offset:576
	global_load_b128 v[36:39], v36, s[2:3] offset:592
	s_waitcnt vmcnt(1) lgkmcnt(0)
	v_mul_f64 v[56:57], v[110:111], v[42:43]
	scratch_store_b128 off, v[40:43], off offset:392 ; 16-byte Folded Spill
	s_waitcnt vmcnt(0)
	scratch_store_b128 off, v[36:39], off offset:376 ; 16-byte Folded Spill
	v_fma_f64 v[161:162], v[108:109], v[40:41], -v[56:57]
	v_mul_f64 v[56:57], v[108:109], v[42:43]
	s_delay_alu instid0(VALU_DEP_1) | instskip(SKIP_3) | instid1(VALU_DEP_1)
	v_fma_f64 v[163:164], v[110:111], v[40:41], v[56:57]
	ds_load_b128 v[56:59], v220 offset:19040
	s_waitcnt lgkmcnt(0)
	v_mul_f64 v[108:109], v[58:59], v[38:39]
	v_fma_f64 v[165:166], v[56:57], v[36:37], -v[108:109]
	v_mul_f64 v[56:57], v[56:57], v[38:39]
	s_delay_alu instid0(VALU_DEP_1) | instskip(SKIP_2) | instid1(VALU_DEP_1)
	v_fma_f64 v[167:168], v[58:59], v[36:37], v[56:57]
	v_add_f64 v[56:57], v[0:1], -v[4:5]
	v_add_f64 v[58:59], v[10:11], -v[12:13]
	v_add_f64 v[117:118], v[56:57], v[58:59]
	v_add_f64 v[56:57], v[2:3], -v[6:7]
	v_add_f64 v[58:59], v[8:9], -v[14:15]
	s_delay_alu instid0(VALU_DEP_1)
	v_add_f64 v[119:120], v[56:57], v[58:59]
	ds_load_b128 v[56:59], v220
	ds_load_b128 v[108:111], v220 offset:1360
	s_waitcnt lgkmcnt(0)
	s_waitcnt_vscnt null, 0x0
	s_barrier
	buffer_gl0_inv
	v_fma_f64 v[121:122], v[113:114], -0.5, v[56:57]
	v_add_f64 v[113:114], v[6:7], v[14:15]
	s_delay_alu instid0(VALU_DEP_1) | instskip(NEXT) | instid1(VALU_DEP_3)
	v_fma_f64 v[123:124], v[113:114], -0.5, v[58:59]
	v_fma_f64 v[113:114], v[129:130], s[16:17], v[121:122]
	v_fma_f64 v[121:122], v[129:130], s[18:19], v[121:122]
	s_delay_alu instid0(VALU_DEP_3) | instskip(SKIP_1) | instid1(VALU_DEP_4)
	v_fma_f64 v[115:116], v[133:134], s[18:19], v[123:124]
	v_fma_f64 v[123:124], v[133:134], s[16:17], v[123:124]
	;; [unrolled: 1-line block ×3, first 2 shown]
	s_delay_alu instid0(VALU_DEP_4) | instskip(NEXT) | instid1(VALU_DEP_4)
	v_fma_f64 v[121:122], v[131:132], s[10:11], v[121:122]
	v_fma_f64 v[115:116], v[135:136], s[10:11], v[115:116]
	s_delay_alu instid0(VALU_DEP_4) | instskip(NEXT) | instid1(VALU_DEP_4)
	v_fma_f64 v[123:124], v[135:136], s[8:9], v[123:124]
	v_fma_f64 v[113:114], v[117:118], s[20:21], v[113:114]
	s_delay_alu instid0(VALU_DEP_4) | instskip(SKIP_4) | instid1(VALU_DEP_4)
	v_fma_f64 v[117:118], v[117:118], s[20:21], v[121:122]
	v_add_f64 v[121:122], v[0:1], v[10:11]
	v_fma_f64 v[115:116], v[119:120], s[20:21], v[115:116]
	v_fma_f64 v[119:120], v[119:120], s[20:21], v[123:124]
	v_add_f64 v[123:124], v[2:3], v[8:9]
	v_fma_f64 v[121:122], v[121:122], -0.5, v[56:57]
	v_add_f64 v[56:57], v[56:57], v[0:1]
	v_add_f64 v[0:1], v[4:5], -v[0:1]
	s_delay_alu instid0(VALU_DEP_4) | instskip(SKIP_3) | instid1(VALU_DEP_3)
	v_fma_f64 v[123:124], v[123:124], -0.5, v[58:59]
	v_add_f64 v[58:59], v[58:59], v[2:3]
	v_add_f64 v[2:3], v[6:7], -v[2:3]
	v_add_f64 v[4:5], v[56:57], v[4:5]
	v_add_f64 v[56:57], v[58:59], v[6:7]
	s_delay_alu instid0(VALU_DEP_2) | instskip(SKIP_1) | instid1(VALU_DEP_3)
	v_add_f64 v[4:5], v[4:5], v[12:13]
	v_add_f64 v[12:13], v[12:13], -v[10:11]
	v_add_f64 v[6:7], v[56:57], v[14:15]
	s_delay_alu instid0(VALU_DEP_3)
	v_add_f64 v[56:57], v[4:5], v[10:11]
	v_add_f64 v[4:5], v[14:15], -v[8:9]
	v_fma_f64 v[10:11], v[135:136], s[16:17], v[123:124]
	v_fma_f64 v[14:15], v[135:136], s[18:19], v[123:124]
	v_add_f64 v[0:1], v[0:1], v[12:13]
	v_add_f64 v[58:59], v[6:7], v[8:9]
	v_fma_f64 v[6:7], v[131:132], s[18:19], v[121:122]
	v_fma_f64 v[8:9], v[131:132], s[16:17], v[121:122]
	v_add_f64 v[2:3], v[2:3], v[4:5]
	s_delay_alu instid0(VALU_DEP_3) | instskip(NEXT) | instid1(VALU_DEP_3)
	v_fma_f64 v[4:5], v[129:130], s[8:9], v[6:7]
	v_fma_f64 v[6:7], v[129:130], s[10:11], v[8:9]
	;; [unrolled: 1-line block ×4, first 2 shown]
	v_add_f64 v[14:15], v[16:17], -v[28:29]
	v_fma_f64 v[121:122], v[0:1], s[20:21], v[4:5]
	v_fma_f64 v[129:130], v[0:1], s[20:21], v[6:7]
	;; [unrolled: 1-line block ×4, first 2 shown]
	v_add_f64 v[0:1], v[16:17], -v[20:21]
	v_add_f64 v[2:3], v[28:29], -v[24:25]
	;; [unrolled: 1-line block ×3, first 2 shown]
	v_add_f64 v[6:7], v[22:23], v[26:27]
	v_add_f64 v[8:9], v[18:19], -v[30:31]
	v_add_f64 v[10:11], v[22:23], -v[26:27]
	v_add_f64 v[0:1], v[0:1], v[2:3]
	v_add_f64 v[2:3], v[18:19], -v[22:23]
	v_fma_f64 v[6:7], v[6:7], -0.5, v[110:111]
	s_delay_alu instid0(VALU_DEP_2) | instskip(SKIP_1) | instid1(VALU_DEP_3)
	v_add_f64 v[2:3], v[2:3], v[4:5]
	v_add_f64 v[4:5], v[20:21], v[24:25]
	v_fma_f64 v[133:134], v[14:15], s[18:19], v[6:7]
	v_fma_f64 v[6:7], v[14:15], s[16:17], v[6:7]
	s_delay_alu instid0(VALU_DEP_3) | instskip(NEXT) | instid1(VALU_DEP_3)
	v_fma_f64 v[4:5], v[4:5], -0.5, v[108:109]
	v_fma_f64 v[135:136], v[141:142], s[10:11], v[133:134]
	s_delay_alu instid0(VALU_DEP_3) | instskip(NEXT) | instid1(VALU_DEP_3)
	v_fma_f64 v[6:7], v[141:142], s[8:9], v[6:7]
	v_fma_f64 v[12:13], v[8:9], s[16:17], v[4:5]
	;; [unrolled: 1-line block ×3, first 2 shown]
	s_delay_alu instid0(VALU_DEP_3)
	v_fma_f64 v[139:140], v[2:3], s[20:21], v[6:7]
	v_add_f64 v[6:7], v[110:111], v[18:19]
	v_fma_f64 v[135:136], v[2:3], s[20:21], v[135:136]
	v_add_f64 v[2:3], v[18:19], v[30:31]
	v_fma_f64 v[12:13], v[10:11], s[8:9], v[12:13]
	v_fma_f64 v[4:5], v[10:11], s[10:11], v[4:5]
	v_add_f64 v[6:7], v[6:7], v[22:23]
	s_delay_alu instid0(VALU_DEP_4) | instskip(NEXT) | instid1(VALU_DEP_4)
	v_fma_f64 v[2:3], v[2:3], -0.5, v[110:111]
	v_fma_f64 v[133:134], v[0:1], s[20:21], v[12:13]
	s_delay_alu instid0(VALU_DEP_4)
	v_fma_f64 v[137:138], v[0:1], s[20:21], v[4:5]
	v_add_f64 v[4:5], v[108:109], v[16:17]
	v_add_f64 v[0:1], v[16:17], v[28:29]
	;; [unrolled: 1-line block ×3, first 2 shown]
	v_add_f64 v[12:13], v[20:21], -v[16:17]
	v_add_f64 v[16:17], v[22:23], -v[18:19]
	;; [unrolled: 1-line block ×3, first 2 shown]
	v_add_f64 v[4:5], v[4:5], v[20:21]
	v_fma_f64 v[0:1], v[0:1], -0.5, v[108:109]
	v_add_f64 v[110:111], v[6:7], v[30:31]
	v_add_f64 v[20:21], v[165:166], -v[161:162]
	v_add_f64 v[12:13], v[12:13], v[18:19]
	v_add_f64 v[4:5], v[4:5], v[24:25]
	v_fma_f64 v[6:7], v[10:11], s[18:19], v[0:1]
	v_fma_f64 v[0:1], v[10:11], s[16:17], v[0:1]
	;; [unrolled: 1-line block ×4, first 2 shown]
	v_lshlrev_b32_e32 v24, 6, v112
	v_add_f64 v[108:109], v[4:5], v[28:29]
	v_add_f64 v[4:5], v[26:27], -v[30:31]
	v_fma_f64 v[0:1], v[8:9], s[10:11], v[0:1]
	v_fma_f64 v[6:7], v[8:9], s[8:9], v[6:7]
	v_fma_f64 v[2:3], v[14:15], s[8:9], v[2:3]
	v_fma_f64 v[8:9], v[14:15], s[10:11], v[10:11]
	v_add_f64 v[14:15], v[157:158], -v[161:162]
	v_add_f64 v[10:11], v[125:126], -v[167:168]
	v_add_f64 v[4:5], v[16:17], v[4:5]
	v_fma_f64 v[145:146], v[12:13], s[20:21], v[0:1]
	v_add_f64 v[0:1], v[157:158], -v[85:86]
	v_fma_f64 v[141:142], v[12:13], s[20:21], v[6:7]
	v_add_f64 v[6:7], v[125:126], v[167:168]
	v_add_f64 v[16:17], v[85:86], -v[165:166]
	v_fma_f64 v[147:148], v[4:5], s[20:21], v[2:3]
	v_add_f64 v[2:3], v[161:162], -v[165:166]
	v_fma_f64 v[143:144], v[4:5], s[20:21], v[8:9]
	v_add_f64 v[4:5], v[163:164], -v[167:168]
	v_fma_f64 v[6:7], v[6:7], -0.5, v[106:107]
	v_add_f64 v[8:9], v[159:160], -v[163:164]
	v_add_f64 v[0:1], v[0:1], v[2:3]
	v_add_f64 v[2:3], v[159:160], -v[125:126]
	s_delay_alu instid0(VALU_DEP_4) | instskip(SKIP_1) | instid1(VALU_DEP_3)
	v_fma_f64 v[18:19], v[14:15], s[16:17], v[6:7]
	v_fma_f64 v[6:7], v[14:15], s[18:19], v[6:7]
	v_add_f64 v[2:3], v[2:3], v[4:5]
	v_add_f64 v[4:5], v[85:86], v[165:166]
	s_delay_alu instid0(VALU_DEP_4) | instskip(NEXT) | instid1(VALU_DEP_4)
	v_fma_f64 v[18:19], v[16:17], s[10:11], v[18:19]
	v_fma_f64 v[6:7], v[16:17], s[8:9], v[6:7]
	s_delay_alu instid0(VALU_DEP_3) | instskip(NEXT) | instid1(VALU_DEP_3)
	v_fma_f64 v[4:5], v[4:5], -0.5, v[104:105]
	v_fma_f64 v[151:152], v[2:3], s[20:21], v[18:19]
	s_delay_alu instid0(VALU_DEP_3)
	v_fma_f64 v[155:156], v[2:3], s[20:21], v[6:7]
	v_add_f64 v[6:7], v[106:107], v[125:126]
	v_add_f64 v[2:3], v[159:160], v[163:164]
	v_add_f64 v[18:19], v[125:126], -v[159:160]
	v_fma_f64 v[12:13], v[8:9], s[18:19], v[4:5]
	v_fma_f64 v[4:5], v[8:9], s[16:17], v[4:5]
	v_add_f64 v[6:7], v[6:7], v[159:160]
	v_fma_f64 v[2:3], v[2:3], -0.5, v[106:107]
	s_delay_alu instid0(VALU_DEP_4) | instskip(NEXT) | instid1(VALU_DEP_4)
	v_fma_f64 v[12:13], v[10:11], s[8:9], v[12:13]
	v_fma_f64 v[4:5], v[10:11], s[10:11], v[4:5]
	s_delay_alu instid0(VALU_DEP_4) | instskip(NEXT) | instid1(VALU_DEP_3)
	v_add_f64 v[6:7], v[6:7], v[163:164]
	v_fma_f64 v[149:150], v[0:1], s[20:21], v[12:13]
	s_delay_alu instid0(VALU_DEP_3) | instskip(SKIP_4) | instid1(VALU_DEP_4)
	v_fma_f64 v[153:154], v[0:1], s[20:21], v[4:5]
	v_add_f64 v[4:5], v[104:105], v[85:86]
	v_add_f64 v[0:1], v[157:158], v[161:162]
	v_add_f64 v[12:13], v[85:86], -v[157:158]
	v_add_f64 v[106:107], v[6:7], v[167:168]
	v_add_f64 v[4:5], v[4:5], v[157:158]
	s_delay_alu instid0(VALU_DEP_4) | instskip(NEXT) | instid1(VALU_DEP_4)
	v_fma_f64 v[0:1], v[0:1], -0.5, v[104:105]
	v_add_f64 v[12:13], v[12:13], v[20:21]
	s_delay_alu instid0(VALU_DEP_3) | instskip(NEXT) | instid1(VALU_DEP_3)
	v_add_f64 v[4:5], v[4:5], v[161:162]
	v_fma_f64 v[6:7], v[10:11], s[16:17], v[0:1]
	v_fma_f64 v[0:1], v[10:11], s[18:19], v[0:1]
	;; [unrolled: 1-line block ×4, first 2 shown]
	v_add_f64 v[104:105], v[4:5], v[165:166]
	v_add_f64 v[4:5], v[167:168], -v[163:164]
	v_fma_f64 v[0:1], v[8:9], s[10:11], v[0:1]
	v_fma_f64 v[6:7], v[8:9], s[8:9], v[6:7]
	;; [unrolled: 1-line block ×4, first 2 shown]
	v_add_f64 v[4:5], v[18:19], v[4:5]
	v_fma_f64 v[161:162], v[12:13], s[20:21], v[0:1]
	v_cndmask_b32_e64 v0, 0, 0xff, s0
	v_fma_f64 v[157:158], v[12:13], s[20:21], v[6:7]
	s_delay_alu instid0(VALU_DEP_2) | instskip(NEXT) | instid1(VALU_DEP_1)
	v_add_nc_u32_e32 v0, v84, v0
	v_add_lshl_u32 v0, v204, v0, 4
	ds_store_b128 v0, v[56:59]
	ds_store_b128 v0, v[113:116] offset:816
	ds_store_b128 v0, v[121:124] offset:1632
	;; [unrolled: 1-line block ×3, first 2 shown]
	scratch_store_b32 off, v0, off offset:356 ; 4-byte Folded Spill
	ds_store_b128 v0, v[117:120] offset:3264
	v_and_b32_e32 v0, 0xffff, v32
	s_delay_alu instid0(VALU_DEP_1) | instskip(NEXT) | instid1(VALU_DEP_1)
	v_mul_u32_u24_e32 v0, 0xff, v0
	v_add_nc_u32_e32 v0, v0, v33
	s_delay_alu instid0(VALU_DEP_1)
	v_add_lshl_u32 v0, v204, v0, 4
	ds_store_b128 v0, v[108:111]
	ds_store_b128 v0, v[133:136] offset:816
	ds_store_b128 v0, v[141:144] offset:1632
	;; [unrolled: 1-line block ×3, first 2 shown]
	v_fma_f64 v[159:160], v[4:5], s[20:21], v[8:9]
	v_fma_f64 v[163:164], v[4:5], s[20:21], v[2:3]
	scratch_store_b32 off, v0, off offset:336 ; 4-byte Folded Spill
	ds_store_b128 v0, v[137:140] offset:3264
	v_and_b32_e32 v0, 0xffff, v34
	v_lshlrev_b32_e32 v108, 6, v218
	s_delay_alu instid0(VALU_DEP_2) | instskip(NEXT) | instid1(VALU_DEP_1)
	v_mul_u32_u24_e32 v0, 0xff, v0
	v_add_nc_u32_e32 v0, v0, v35
	s_delay_alu instid0(VALU_DEP_1)
	v_add_lshl_u32 v133, v204, v0, 4
	ds_store_b128 v133, v[104:107]
	ds_store_b128 v133, v[157:160] offset:816
	ds_store_b128 v133, v[149:152] offset:1632
	;; [unrolled: 1-line block ×4, first 2 shown]
	s_waitcnt lgkmcnt(0)
	s_waitcnt_vscnt null, 0x0
	s_barrier
	buffer_gl0_inv
	s_clause 0x1
	global_load_b128 v[4:7], v108, s[2:3] offset:3808
	global_load_b128 v[8:11], v108, s[2:3] offset:3824
	ds_load_b128 v[104:107], v220 offset:4080
	ds_load_b128 v[172:175], v220 offset:2720
	s_waitcnt vmcnt(1) lgkmcnt(1)
	v_mul_f64 v[0:1], v[106:107], v[6:7]
	v_mul_f64 v[2:3], v[104:105], v[6:7]
	scratch_store_b128 off, v[4:7], off offset:208 ; 16-byte Folded Spill
	v_fma_f64 v[0:1], v[104:105], v[4:5], -v[0:1]
	v_fma_f64 v[2:3], v[106:107], v[4:5], v[2:3]
	ds_load_b128 v[104:107], v220 offset:8160
	ds_load_b128 v[120:123], v220 offset:9520
	s_waitcnt vmcnt(0)
	scratch_store_b128 off, v[8:11], off offset:320 ; 16-byte Folded Spill
	s_clause 0x1
	global_load_b128 v[12:15], v108, s[2:3] offset:3840
	global_load_b128 v[16:19], v108, s[2:3] offset:3856
	ds_load_b128 v[113:116], v220 offset:12240
	ds_load_b128 v[136:139], v220 offset:10880
	s_waitcnt lgkmcnt(3)
	v_mul_f64 v[4:5], v[106:107], v[10:11]
	v_mul_f64 v[6:7], v[104:105], v[10:11]
	s_delay_alu instid0(VALU_DEP_2) | instskip(NEXT) | instid1(VALU_DEP_2)
	v_fma_f64 v[4:5], v[104:105], v[8:9], -v[4:5]
	v_fma_f64 v[6:7], v[106:107], v[8:9], v[6:7]
	s_waitcnt vmcnt(1) lgkmcnt(1)
	v_mul_f64 v[8:9], v[115:116], v[14:15]
	v_mul_f64 v[10:11], v[113:114], v[14:15]
	scratch_store_b128 off, v[12:15], off offset:408 ; 16-byte Folded Spill
	v_fma_f64 v[8:9], v[113:114], v[12:13], -v[8:9]
	v_fma_f64 v[10:11], v[115:116], v[12:13], v[10:11]
	ds_load_b128 v[113:116], v220 offset:16320
	ds_load_b128 v[129:132], v220 offset:17680
	s_waitcnt vmcnt(0)
	scratch_store_b128 off, v[16:19], off offset:424 ; 16-byte Folded Spill
	s_clause 0x1
	global_load_b128 v[20:23], v24, s[2:3] offset:3808
	global_load_b128 v[25:28], v24, s[2:3] offset:3824
	ds_load_b128 v[124:127], v220 offset:5440
	ds_load_b128 v[140:143], v220 offset:6800
	s_waitcnt lgkmcnt(3)
	v_mul_f64 v[12:13], v[115:116], v[18:19]
	v_mul_f64 v[14:15], v[113:114], v[18:19]
	v_add_f64 v[178:179], v[4:5], -v[8:9]
	v_add_f64 v[170:171], v[6:7], -v[10:11]
	s_delay_alu instid0(VALU_DEP_4) | instskip(NEXT) | instid1(VALU_DEP_4)
	v_fma_f64 v[12:13], v[113:114], v[16:17], -v[12:13]
	v_fma_f64 v[14:15], v[115:116], v[16:17], v[14:15]
	s_delay_alu instid0(VALU_DEP_2) | instskip(NEXT) | instid1(VALU_DEP_2)
	v_add_f64 v[176:177], v[0:1], -v[12:13]
	v_add_f64 v[168:169], v[2:3], -v[14:15]
	s_waitcnt vmcnt(1) lgkmcnt(1)
	v_mul_f64 v[16:17], v[126:127], v[22:23]
	v_mul_f64 v[18:19], v[124:125], v[22:23]
	scratch_store_b128 off, v[20:23], off offset:456 ; 16-byte Folded Spill
	s_waitcnt vmcnt(0)
	scratch_store_b128 off, v[25:28], off offset:440 ; 16-byte Folded Spill
	v_mul_f64 v[22:23], v[120:121], v[27:28]
	v_fma_f64 v[16:17], v[124:125], v[20:21], -v[16:17]
	v_fma_f64 v[18:19], v[126:127], v[20:21], v[18:19]
	v_mul_f64 v[20:21], v[122:123], v[27:28]
	s_clause 0x1
	global_load_b128 v[28:31], v24, s[2:3] offset:3840
	global_load_b128 v[32:35], v24, s[2:3] offset:3856
	ds_load_b128 v[144:147], v220 offset:13600
	ds_load_b128 v[148:151], v220 offset:14960
	v_fma_f64 v[22:23], v[122:123], v[25:26], v[22:23]
	v_fma_f64 v[20:21], v[120:121], v[25:26], -v[20:21]
	s_waitcnt vmcnt(1) lgkmcnt(1)
	v_mul_f64 v[24:25], v[146:147], v[30:31]
	v_mul_f64 v[26:27], v[144:145], v[30:31]
	scratch_store_b128 off, v[28:31], off offset:488 ; 16-byte Folded Spill
	s_waitcnt vmcnt(0)
	scratch_store_b128 off, v[32:35], off offset:472 ; 16-byte Folded Spill
	v_mul_f64 v[30:31], v[129:130], v[34:35]
	v_fma_f64 v[24:25], v[144:145], v[28:29], -v[24:25]
	v_fma_f64 v[26:27], v[146:147], v[28:29], v[26:27]
	v_mul_f64 v[28:29], v[131:132], v[34:35]
	s_delay_alu instid0(VALU_DEP_4) | instskip(NEXT) | instid1(VALU_DEP_2)
	v_fma_f64 v[30:31], v[131:132], v[32:33], v[30:31]
	v_fma_f64 v[28:29], v[129:130], v[32:33], -v[28:29]
	v_lshlrev_b32_e32 v32, 6, v128
	s_clause 0x1
	global_load_b128 v[37:40], v32, s[2:3] offset:3808
	global_load_b128 v[33:36], v32, s[2:3] offset:3824
	s_waitcnt vmcnt(1)
	v_mul_f64 v[144:145], v[142:143], v[39:40]
	scratch_store_b128 off, v[37:40], off offset:520 ; 16-byte Folded Spill
	s_waitcnt vmcnt(0)
	scratch_store_b128 off, v[33:36], off offset:504 ; 16-byte Folded Spill
	v_fma_f64 v[192:193], v[140:141], v[37:38], -v[144:145]
	v_mul_f64 v[140:141], v[140:141], v[39:40]
	s_delay_alu instid0(VALU_DEP_1) | instskip(SKIP_1) | instid1(VALU_DEP_1)
	v_fma_f64 v[194:195], v[142:143], v[37:38], v[140:141]
	v_mul_f64 v[140:141], v[138:139], v[35:36]
	v_fma_f64 v[196:197], v[136:137], v[33:34], -v[140:141]
	v_mul_f64 v[136:137], v[136:137], v[35:36]
	s_delay_alu instid0(VALU_DEP_1)
	v_fma_f64 v[198:199], v[138:139], v[33:34], v[136:137]
	s_clause 0x1
	global_load_b128 v[140:143], v32, s[2:3] offset:3840
	global_load_b128 v[136:139], v32, s[2:3] offset:3856
	s_waitcnt vmcnt(1) lgkmcnt(0)
	v_mul_f64 v[144:145], v[150:151], v[142:143]
	s_delay_alu instid0(VALU_DEP_1) | instskip(SKIP_1) | instid1(VALU_DEP_1)
	v_fma_f64 v[204:205], v[148:149], v[140:141], -v[144:145]
	v_mul_f64 v[144:145], v[148:149], v[142:143]
	v_fma_f64 v[206:207], v[150:151], v[140:141], v[144:145]
	ds_load_b128 v[144:147], v220 offset:19040
	s_waitcnt vmcnt(0) lgkmcnt(0)
	v_mul_f64 v[148:149], v[146:147], v[138:139]
	s_delay_alu instid0(VALU_DEP_1) | instskip(SKIP_2) | instid1(VALU_DEP_2)
	v_fma_f64 v[208:209], v[144:145], v[136:137], -v[148:149]
	v_mul_f64 v[144:145], v[144:145], v[138:139]
	v_add_f64 v[148:149], v[4:5], v[8:9]
	v_fma_f64 v[210:211], v[146:147], v[136:137], v[144:145]
	v_add_f64 v[144:145], v[0:1], -v[4:5]
	v_add_f64 v[146:147], v[12:13], -v[8:9]
	s_delay_alu instid0(VALU_DEP_1) | instskip(SKIP_2) | instid1(VALU_DEP_1)
	v_add_f64 v[152:153], v[144:145], v[146:147]
	v_add_f64 v[144:145], v[2:3], -v[6:7]
	v_add_f64 v[146:147], v[14:15], -v[10:11]
	v_add_f64 v[154:155], v[144:145], v[146:147]
	ds_load_b128 v[144:147], v220
	ds_load_b128 v[164:167], v220 offset:1360
	s_waitcnt lgkmcnt(1)
	v_fma_f64 v[156:157], v[148:149], -0.5, v[144:145]
	v_add_f64 v[148:149], v[6:7], v[10:11]
	s_delay_alu instid0(VALU_DEP_1) | instskip(NEXT) | instid1(VALU_DEP_3)
	v_fma_f64 v[158:159], v[148:149], -0.5, v[146:147]
	v_fma_f64 v[148:149], v[168:169], s[16:17], v[156:157]
	v_fma_f64 v[156:157], v[168:169], s[18:19], v[156:157]
	s_delay_alu instid0(VALU_DEP_3) | instskip(SKIP_1) | instid1(VALU_DEP_4)
	v_fma_f64 v[150:151], v[176:177], s[18:19], v[158:159]
	v_fma_f64 v[158:159], v[176:177], s[16:17], v[158:159]
	;; [unrolled: 1-line block ×3, first 2 shown]
	s_delay_alu instid0(VALU_DEP_4) | instskip(NEXT) | instid1(VALU_DEP_4)
	v_fma_f64 v[156:157], v[170:171], s[10:11], v[156:157]
	v_fma_f64 v[150:151], v[178:179], s[10:11], v[150:151]
	s_delay_alu instid0(VALU_DEP_4) | instskip(NEXT) | instid1(VALU_DEP_4)
	v_fma_f64 v[158:159], v[178:179], s[8:9], v[158:159]
	v_fma_f64 v[148:149], v[152:153], s[20:21], v[148:149]
	s_delay_alu instid0(VALU_DEP_4) | instskip(SKIP_4) | instid1(VALU_DEP_4)
	v_fma_f64 v[160:161], v[152:153], s[20:21], v[156:157]
	v_add_f64 v[152:153], v[0:1], v[12:13]
	v_fma_f64 v[150:151], v[154:155], s[20:21], v[150:151]
	v_fma_f64 v[162:163], v[154:155], s[20:21], v[158:159]
	v_add_f64 v[154:155], v[2:3], v[14:15]
	v_fma_f64 v[152:153], v[152:153], -0.5, v[144:145]
	v_add_f64 v[144:145], v[144:145], v[0:1]
	v_add_f64 v[0:1], v[4:5], -v[0:1]
	s_delay_alu instid0(VALU_DEP_4) | instskip(SKIP_3) | instid1(VALU_DEP_3)
	v_fma_f64 v[154:155], v[154:155], -0.5, v[146:147]
	v_add_f64 v[146:147], v[146:147], v[2:3]
	v_add_f64 v[2:3], v[6:7], -v[2:3]
	v_add_f64 v[4:5], v[144:145], v[4:5]
	v_add_f64 v[144:145], v[146:147], v[6:7]
	s_delay_alu instid0(VALU_DEP_2) | instskip(SKIP_1) | instid1(VALU_DEP_3)
	v_add_f64 v[4:5], v[4:5], v[8:9]
	v_add_f64 v[8:9], v[8:9], -v[12:13]
	v_add_f64 v[6:7], v[144:145], v[10:11]
	s_delay_alu instid0(VALU_DEP_3)
	v_add_f64 v[144:145], v[4:5], v[12:13]
	v_add_f64 v[4:5], v[10:11], -v[14:15]
	v_fma_f64 v[10:11], v[170:171], s[16:17], v[152:153]
	v_fma_f64 v[12:13], v[178:179], s[16:17], v[154:155]
	v_add_f64 v[0:1], v[0:1], v[8:9]
	v_add_f64 v[146:147], v[6:7], v[14:15]
	v_fma_f64 v[6:7], v[170:171], s[18:19], v[152:153]
	v_fma_f64 v[14:15], v[178:179], s[18:19], v[154:155]
	v_add_f64 v[2:3], v[2:3], v[4:5]
	v_fma_f64 v[8:9], v[176:177], s[10:11], v[12:13]
	ds_store_b128 v225, v[144:147]
	v_fma_f64 v[4:5], v[168:169], s[8:9], v[6:7]
	v_fma_f64 v[6:7], v[168:169], s[10:11], v[10:11]
	;; [unrolled: 1-line block ×3, first 2 shown]
	v_add_f64 v[14:15], v[16:17], -v[28:29]
	v_fma_f64 v[154:155], v[2:3], s[20:21], v[8:9]
	v_add_f64 v[8:9], v[18:19], -v[30:31]
	v_add_f64 v[176:177], v[20:21], -v[24:25]
	v_fma_f64 v[152:153], v[0:1], s[20:21], v[4:5]
	v_fma_f64 v[156:157], v[0:1], s[20:21], v[6:7]
	;; [unrolled: 1-line block ×3, first 2 shown]
	v_add_f64 v[0:1], v[16:17], -v[20:21]
	v_add_f64 v[2:3], v[28:29], -v[24:25]
	;; [unrolled: 1-line block ×3, first 2 shown]
	v_add_f64 v[6:7], v[22:23], v[26:27]
	v_add_f64 v[10:11], v[22:23], -v[26:27]
	s_delay_alu instid0(VALU_DEP_4) | instskip(SKIP_2) | instid1(VALU_DEP_4)
	v_add_f64 v[0:1], v[0:1], v[2:3]
	v_add_f64 v[2:3], v[18:19], -v[22:23]
	s_waitcnt lgkmcnt(1)
	v_fma_f64 v[6:7], v[6:7], -0.5, v[166:167]
	s_delay_alu instid0(VALU_DEP_2) | instskip(SKIP_1) | instid1(VALU_DEP_3)
	v_add_f64 v[2:3], v[2:3], v[4:5]
	v_add_f64 v[4:5], v[20:21], v[24:25]
	v_fma_f64 v[168:169], v[14:15], s[18:19], v[6:7]
	v_fma_f64 v[6:7], v[14:15], s[16:17], v[6:7]
	s_delay_alu instid0(VALU_DEP_3) | instskip(NEXT) | instid1(VALU_DEP_3)
	v_fma_f64 v[4:5], v[4:5], -0.5, v[164:165]
	v_fma_f64 v[170:171], v[176:177], s[10:11], v[168:169]
	s_delay_alu instid0(VALU_DEP_3) | instskip(NEXT) | instid1(VALU_DEP_3)
	v_fma_f64 v[6:7], v[176:177], s[8:9], v[6:7]
	v_fma_f64 v[12:13], v[8:9], s[16:17], v[4:5]
	;; [unrolled: 1-line block ×3, first 2 shown]
	s_delay_alu instid0(VALU_DEP_3)
	v_fma_f64 v[186:187], v[2:3], s[20:21], v[6:7]
	v_add_f64 v[6:7], v[166:167], v[18:19]
	v_fma_f64 v[170:171], v[2:3], s[20:21], v[170:171]
	v_add_f64 v[2:3], v[18:19], v[30:31]
	v_fma_f64 v[12:13], v[10:11], s[8:9], v[12:13]
	v_fma_f64 v[4:5], v[10:11], s[10:11], v[4:5]
	v_add_f64 v[6:7], v[6:7], v[22:23]
	s_delay_alu instid0(VALU_DEP_4) | instskip(NEXT) | instid1(VALU_DEP_4)
	v_fma_f64 v[2:3], v[2:3], -0.5, v[166:167]
	v_fma_f64 v[168:169], v[0:1], s[20:21], v[12:13]
	s_delay_alu instid0(VALU_DEP_4)
	v_fma_f64 v[184:185], v[0:1], s[20:21], v[4:5]
	v_add_f64 v[4:5], v[164:165], v[16:17]
	v_add_f64 v[0:1], v[16:17], v[28:29]
	;; [unrolled: 1-line block ×3, first 2 shown]
	v_add_f64 v[12:13], v[20:21], -v[16:17]
	v_add_f64 v[16:17], v[22:23], -v[18:19]
	;; [unrolled: 1-line block ×3, first 2 shown]
	v_add_f64 v[4:5], v[4:5], v[20:21]
	v_fma_f64 v[0:1], v[0:1], -0.5, v[164:165]
	v_add_f64 v[166:167], v[6:7], v[30:31]
	v_add_f64 v[20:21], v[208:209], -v[204:205]
	v_add_f64 v[12:13], v[12:13], v[18:19]
	v_add_f64 v[4:5], v[4:5], v[24:25]
	v_fma_f64 v[6:7], v[10:11], s[18:19], v[0:1]
	v_fma_f64 v[0:1], v[10:11], s[16:17], v[0:1]
	;; [unrolled: 1-line block ×4, first 2 shown]
	v_add_f64 v[164:165], v[4:5], v[28:29]
	v_add_f64 v[4:5], v[26:27], -v[30:31]
	v_fma_f64 v[0:1], v[8:9], s[10:11], v[0:1]
	v_fma_f64 v[6:7], v[8:9], s[8:9], v[6:7]
	;; [unrolled: 1-line block ×4, first 2 shown]
	v_add_f64 v[14:15], v[196:197], -v[204:205]
	v_add_f64 v[10:11], v[194:195], -v[210:211]
	v_add_f64 v[4:5], v[16:17], v[4:5]
	v_fma_f64 v[200:201], v[12:13], s[20:21], v[0:1]
	v_add_f64 v[0:1], v[196:197], -v[192:193]
	v_fma_f64 v[188:189], v[12:13], s[20:21], v[6:7]
	v_add_f64 v[6:7], v[194:195], v[210:211]
	v_add_f64 v[16:17], v[192:193], -v[208:209]
	v_fma_f64 v[202:203], v[4:5], s[20:21], v[2:3]
	v_add_f64 v[2:3], v[204:205], -v[208:209]
	v_fma_f64 v[190:191], v[4:5], s[20:21], v[8:9]
	v_add_f64 v[4:5], v[206:207], -v[210:211]
	v_fma_f64 v[6:7], v[6:7], -0.5, v[174:175]
	v_add_f64 v[8:9], v[198:199], -v[206:207]
	v_add_f64 v[0:1], v[0:1], v[2:3]
	v_add_f64 v[2:3], v[198:199], -v[194:195]
	s_delay_alu instid0(VALU_DEP_4) | instskip(SKIP_1) | instid1(VALU_DEP_3)
	v_fma_f64 v[18:19], v[14:15], s[16:17], v[6:7]
	v_fma_f64 v[6:7], v[14:15], s[18:19], v[6:7]
	v_add_f64 v[2:3], v[2:3], v[4:5]
	v_add_f64 v[4:5], v[192:193], v[208:209]
	s_delay_alu instid0(VALU_DEP_4) | instskip(NEXT) | instid1(VALU_DEP_4)
	v_fma_f64 v[18:19], v[16:17], s[10:11], v[18:19]
	v_fma_f64 v[6:7], v[16:17], s[8:9], v[6:7]
	s_delay_alu instid0(VALU_DEP_3) | instskip(NEXT) | instid1(VALU_DEP_3)
	v_fma_f64 v[4:5], v[4:5], -0.5, v[172:173]
	v_fma_f64 v[182:183], v[2:3], s[20:21], v[18:19]
	s_delay_alu instid0(VALU_DEP_3)
	v_fma_f64 v[178:179], v[2:3], s[20:21], v[6:7]
	v_add_f64 v[6:7], v[174:175], v[194:195]
	v_add_f64 v[2:3], v[198:199], v[206:207]
	v_add_f64 v[18:19], v[194:195], -v[198:199]
	v_fma_f64 v[12:13], v[8:9], s[18:19], v[4:5]
	v_fma_f64 v[4:5], v[8:9], s[16:17], v[4:5]
	v_add_f64 v[6:7], v[6:7], v[198:199]
	v_fma_f64 v[2:3], v[2:3], -0.5, v[174:175]
	s_delay_alu instid0(VALU_DEP_4) | instskip(NEXT) | instid1(VALU_DEP_4)
	v_fma_f64 v[12:13], v[10:11], s[8:9], v[12:13]
	v_fma_f64 v[4:5], v[10:11], s[10:11], v[4:5]
	s_delay_alu instid0(VALU_DEP_4) | instskip(NEXT) | instid1(VALU_DEP_3)
	v_add_f64 v[6:7], v[6:7], v[206:207]
	v_fma_f64 v[180:181], v[0:1], s[20:21], v[12:13]
	s_delay_alu instid0(VALU_DEP_3) | instskip(SKIP_4) | instid1(VALU_DEP_4)
	v_fma_f64 v[176:177], v[0:1], s[20:21], v[4:5]
	v_add_f64 v[4:5], v[172:173], v[192:193]
	v_add_f64 v[0:1], v[196:197], v[204:205]
	v_add_f64 v[12:13], v[192:193], -v[196:197]
	v_add_f64 v[198:199], v[6:7], v[210:211]
	v_add_f64 v[4:5], v[4:5], v[196:197]
	s_delay_alu instid0(VALU_DEP_4) | instskip(NEXT) | instid1(VALU_DEP_4)
	v_fma_f64 v[0:1], v[0:1], -0.5, v[172:173]
	v_add_f64 v[12:13], v[12:13], v[20:21]
	s_delay_alu instid0(VALU_DEP_3) | instskip(NEXT) | instid1(VALU_DEP_3)
	v_add_f64 v[4:5], v[4:5], v[204:205]
	v_fma_f64 v[6:7], v[10:11], s[16:17], v[0:1]
	v_fma_f64 v[0:1], v[10:11], s[18:19], v[0:1]
	;; [unrolled: 1-line block ×4, first 2 shown]
	v_add_f64 v[196:197], v[4:5], v[208:209]
	v_add_f64 v[4:5], v[210:211], -v[206:207]
	v_fma_f64 v[6:7], v[8:9], s[8:9], v[6:7]
	v_fma_f64 v[0:1], v[8:9], s[10:11], v[0:1]
	;; [unrolled: 1-line block ×4, first 2 shown]
	v_add_f64 v[4:5], v[18:19], v[4:5]
	v_fma_f64 v[192:193], v[12:13], s[20:21], v[6:7]
	v_fma_f64 v[172:173], v[12:13], s[20:21], v[0:1]
	s_delay_alu instid0(VALU_DEP_3)
	v_fma_f64 v[194:195], v[4:5], s[20:21], v[8:9]
	v_fma_f64 v[174:175], v[4:5], s[20:21], v[2:3]
	ds_store_b128 v226, v[164:167] offset:1360
	ds_store_b128 v226, v[196:199] offset:2720
	;; [unrolled: 1-line block ×14, first 2 shown]
	s_waitcnt lgkmcnt(0)
	s_waitcnt_vscnt null, 0x0
	s_barrier
	buffer_gl0_inv
	s_and_saveexec_b32 s1, vcc_lo
	s_cbranch_execz .LBB0_9
; %bb.8:
	v_add_co_u32 v231, s0, s12, v255
	s_delay_alu instid0(VALU_DEP_1) | instskip(SKIP_1) | instid1(VALU_DEP_3)
	v_add_co_ci_u32_e64 v232, null, s13, 0, s0
	v_dual_mov_b32 v32, v213 :: v_dual_mov_b32 v33, v214
	v_add_co_u32 v0, s0, 0x4000, v231
	s_delay_alu instid0(VALU_DEP_1) | instskip(SKIP_4) | instid1(VALU_DEP_1)
	v_add_co_ci_u32_e64 v1, s0, 0, v232, s0
	v_dual_mov_b32 v34, v215 :: v_dual_mov_b32 v35, v216
	v_dual_mov_b32 v36, v221 :: v_dual_mov_b32 v37, v222
	global_load_b128 v[204:207], v[0:1], off offset:4016
	v_add_co_u32 v0, s0, 0x4fb0, v231
	v_add_co_ci_u32_e64 v1, s0, 0, v232, s0
	s_clause 0x2
	global_load_b128 v[212:215], v[0:1], off offset:1200
	global_load_b128 v[208:211], v[0:1], off offset:2400
	;; [unrolled: 1-line block ×3, first 2 shown]
	v_add_co_u32 v0, s0, 0x6000, v231
	s_delay_alu instid0(VALU_DEP_1)
	v_add_co_ci_u32_e64 v1, s0, 0, v232, s0
	s_clause 0x2
	global_load_b128 v[237:240], v[0:1], off offset:624
	global_load_b128 v[241:244], v[0:1], off offset:1824
	;; [unrolled: 1-line block ×3, first 2 shown]
	ds_load_b128 v[249:252], v225
	v_add_co_u32 v8, s0, 0x7000, v231
	s_delay_alu instid0(VALU_DEP_1)
	v_add_co_ci_u32_e64 v9, s0, 0, v232, s0
	v_dual_mov_b32 v38, v223 :: v_dual_mov_b32 v39, v224
	s_clause 0x1
	global_load_b128 v[221:224], v[8:9], off offset:128
	global_load_b128 v[0:3], v[8:9], off offset:1328
	s_waitcnt vmcnt(8) lgkmcnt(0)
	v_mul_f64 v[4:5], v[251:252], v[206:207]
	v_mul_f64 v[6:7], v[249:250], v[206:207]
	s_delay_alu instid0(VALU_DEP_2) | instskip(NEXT) | instid1(VALU_DEP_2)
	v_fma_f64 v[249:250], v[249:250], v[204:205], -v[4:5]
	v_fma_f64 v[251:252], v[251:252], v[204:205], v[6:7]
	global_load_b128 v[204:207], v[8:9], off offset:2528
	ds_store_b128 v225, v[249:252]
	ds_load_b128 v[249:252], v226 offset:1200
	ds_load_b128 v[4:7], v226 offset:2400
	;; [unrolled: 1-line block ×3, first 2 shown]
	s_waitcnt vmcnt(8) lgkmcnt(2)
	v_mul_f64 v[10:11], v[251:252], v[214:215]
	v_mul_f64 v[12:13], v[249:250], v[214:215]
	global_load_b128 v[214:217], v[8:9], off offset:3728
	s_waitcnt vmcnt(8) lgkmcnt(1)
	v_mul_f64 v[8:9], v[6:7], v[210:211]
	v_mul_f64 v[14:15], v[4:5], v[210:211]
	v_fma_f64 v[210:211], v[249:250], v[212:213], -v[10:11]
	v_fma_f64 v[212:213], v[251:252], v[212:213], v[12:13]
	v_add_co_u32 v12, s0, 0x8000, v231
	s_delay_alu instid0(VALU_DEP_1)
	v_add_co_ci_u32_e64 v13, s0, 0, v232, s0
	v_fma_f64 v[4:5], v[4:5], v[208:209], -v[8:9]
	ds_load_b128 v[8:11], v226 offset:4800
	v_fma_f64 v[6:7], v[6:7], v[208:209], v[14:15]
	global_load_b128 v[249:252], v[12:13], off offset:832
	s_waitcnt vmcnt(8) lgkmcnt(1)
	v_mul_f64 v[14:15], v[229:230], v[235:236]
	v_mul_f64 v[16:17], v[227:228], v[235:236]
	s_waitcnt vmcnt(7) lgkmcnt(0)
	v_mul_f64 v[18:19], v[10:11], v[239:240]
	s_delay_alu instid0(VALU_DEP_3) | instskip(SKIP_1) | instid1(VALU_DEP_4)
	v_fma_f64 v[227:228], v[227:228], v[233:234], -v[14:15]
	v_mul_f64 v[14:15], v[8:9], v[239:240]
	v_fma_f64 v[229:230], v[229:230], v[233:234], v[16:17]
	ds_load_b128 v[233:236], v226 offset:6000
	v_fma_f64 v[8:9], v[8:9], v[237:238], -v[18:19]
	v_fma_f64 v[10:11], v[10:11], v[237:238], v[14:15]
	ds_load_b128 v[237:240], v226 offset:7200
	s_waitcnt vmcnt(6) lgkmcnt(1)
	v_mul_f64 v[14:15], v[235:236], v[243:244]
	v_mul_f64 v[16:17], v[233:234], v[243:244]
	s_waitcnt vmcnt(5) lgkmcnt(0)
	v_mul_f64 v[18:19], v[239:240], v[247:248]
	s_delay_alu instid0(VALU_DEP_3) | instskip(SKIP_1) | instid1(VALU_DEP_4)
	v_fma_f64 v[233:234], v[233:234], v[241:242], -v[14:15]
	v_mul_f64 v[14:15], v[237:238], v[247:248]
	v_fma_f64 v[235:236], v[235:236], v[241:242], v[16:17]
	ds_load_b128 v[241:244], v226 offset:8400
	v_fma_f64 v[237:238], v[237:238], v[245:246], -v[18:19]
	v_fma_f64 v[239:240], v[239:240], v[245:246], v[14:15]
	ds_load_b128 v[245:248], v226 offset:9600
	s_waitcnt vmcnt(4) lgkmcnt(1)
	v_mul_f64 v[14:15], v[243:244], v[223:224]
	v_mul_f64 v[16:17], v[241:242], v[223:224]
	s_waitcnt vmcnt(3) lgkmcnt(0)
	v_mul_f64 v[18:19], v[247:248], v[2:3]
	v_mul_f64 v[2:3], v[245:246], v[2:3]
	s_delay_alu instid0(VALU_DEP_4) | instskip(NEXT) | instid1(VALU_DEP_4)
	v_fma_f64 v[241:242], v[241:242], v[221:222], -v[14:15]
	v_fma_f64 v[243:244], v[243:244], v[221:222], v[16:17]
	ds_load_b128 v[221:224], v226 offset:10800
	v_fma_f64 v[245:246], v[245:246], v[0:1], -v[18:19]
	v_fma_f64 v[247:248], v[247:248], v[0:1], v[2:3]
	ds_load_b128 v[0:3], v226 offset:12000
	s_waitcnt vmcnt(2) lgkmcnt(1)
	v_mul_f64 v[14:15], v[223:224], v[206:207]
	v_mul_f64 v[16:17], v[221:222], v[206:207]
	s_delay_alu instid0(VALU_DEP_2) | instskip(NEXT) | instid1(VALU_DEP_2)
	v_fma_f64 v[206:207], v[221:222], v[204:205], -v[14:15]
	v_fma_f64 v[208:209], v[223:224], v[204:205], v[16:17]
	ds_load_b128 v[221:224], v226 offset:13200
	v_add_co_u32 v204, s0, 0x9000, v231
	s_delay_alu instid0(VALU_DEP_1) | instskip(SKIP_3) | instid1(VALU_DEP_2)
	v_add_co_ci_u32_e64 v205, s0, 0, v232, s0
	s_waitcnt vmcnt(1) lgkmcnt(1)
	v_mul_f64 v[18:19], v[2:3], v[216:217]
	v_mul_f64 v[14:15], v[0:1], v[216:217]
	v_fma_f64 v[0:1], v[0:1], v[214:215], -v[18:19]
	s_delay_alu instid0(VALU_DEP_2) | instskip(SKIP_4) | instid1(VALU_DEP_2)
	v_fma_f64 v[2:3], v[2:3], v[214:215], v[14:15]
	ds_load_b128 v[214:217], v226 offset:14400
	s_waitcnt vmcnt(0) lgkmcnt(1)
	v_mul_f64 v[14:15], v[223:224], v[251:252]
	v_mul_f64 v[16:17], v[221:222], v[251:252]
	v_fma_f64 v[221:222], v[221:222], v[249:250], -v[14:15]
	s_delay_alu instid0(VALU_DEP_2)
	v_fma_f64 v[223:224], v[223:224], v[249:250], v[16:17]
	s_clause 0x1
	global_load_b128 v[249:252], v[12:13], off offset:2032
	global_load_b128 v[12:15], v[12:13], off offset:3232
	s_waitcnt vmcnt(1) lgkmcnt(0)
	v_mul_f64 v[16:17], v[216:217], v[251:252]
	v_mul_f64 v[18:19], v[214:215], v[251:252]
	s_delay_alu instid0(VALU_DEP_2) | instskip(NEXT) | instid1(VALU_DEP_2)
	v_fma_f64 v[214:215], v[214:215], v[249:250], -v[16:17]
	v_fma_f64 v[216:217], v[216:217], v[249:250], v[18:19]
	ds_load_b128 v[249:252], v226 offset:15600
	ds_load_b128 v[16:19], v226 offset:16800
	s_waitcnt vmcnt(0) lgkmcnt(1)
	v_mul_f64 v[20:21], v[251:252], v[14:15]
	v_mul_f64 v[14:15], v[249:250], v[14:15]
	s_delay_alu instid0(VALU_DEP_2) | instskip(NEXT) | instid1(VALU_DEP_2)
	v_fma_f64 v[249:250], v[249:250], v[12:13], -v[20:21]
	v_fma_f64 v[251:252], v[251:252], v[12:13], v[14:15]
	s_clause 0x1
	global_load_b128 v[12:15], v[204:205], off offset:336
	global_load_b128 v[20:23], v[204:205], off offset:1536
	s_waitcnt vmcnt(1) lgkmcnt(0)
	v_mul_f64 v[24:25], v[18:19], v[14:15]
	v_mul_f64 v[26:27], v[16:17], v[14:15]
	s_delay_alu instid0(VALU_DEP_2) | instskip(NEXT) | instid1(VALU_DEP_2)
	v_fma_f64 v[14:15], v[16:17], v[12:13], -v[24:25]
	v_fma_f64 v[16:17], v[18:19], v[12:13], v[26:27]
	ds_load_b128 v[24:27], v226 offset:18000
	ds_load_b128 v[28:31], v226 offset:19200
	s_waitcnt vmcnt(0) lgkmcnt(1)
	v_mul_f64 v[12:13], v[26:27], v[22:23]
	v_mul_f64 v[22:23], v[24:25], v[22:23]
	s_delay_alu instid0(VALU_DEP_2) | instskip(NEXT) | instid1(VALU_DEP_2)
	v_fma_f64 v[18:19], v[24:25], v[20:21], -v[12:13]
	v_fma_f64 v[20:21], v[26:27], v[20:21], v[22:23]
	global_load_b128 v[22:25], v[204:205], off offset:2736
	ds_store_b128 v226, v[210:213] offset:1200
	ds_store_b128 v226, v[4:7] offset:2400
	;; [unrolled: 1-line block ×11, first 2 shown]
	v_dual_mov_b32 v224, v39 :: v_dual_mov_b32 v223, v38
	ds_store_b128 v226, v[214:217] offset:14400
	v_dual_mov_b32 v216, v35 :: v_dual_mov_b32 v215, v34
	v_dual_mov_b32 v222, v37 :: v_dual_mov_b32 v221, v36
	;; [unrolled: 1-line block ×3, first 2 shown]
	s_waitcnt vmcnt(0) lgkmcnt(12)
	v_mul_f64 v[12:13], v[30:31], v[24:25]
	v_mul_f64 v[26:27], v[28:29], v[24:25]
	s_delay_alu instid0(VALU_DEP_2) | instskip(NEXT) | instid1(VALU_DEP_2)
	v_fma_f64 v[24:25], v[28:29], v[22:23], -v[12:13]
	v_fma_f64 v[26:27], v[30:31], v[22:23], v[26:27]
	ds_store_b128 v226, v[249:252] offset:15600
	ds_store_b128 v226, v[14:17] offset:16800
	;; [unrolled: 1-line block ×4, first 2 shown]
.LBB0_9:
	s_or_b32 exec_lo, exec_lo, s1
	s_waitcnt lgkmcnt(0)
	s_barrier
	buffer_gl0_inv
	s_and_saveexec_b32 s0, vcc_lo
	s_cbranch_execz .LBB0_11
; %bb.10:
	ds_load_b128 v[144:147], v225
	ds_load_b128 v[148:151], v225 offset:1200
	ds_load_b128 v[152:155], v225 offset:2400
	;; [unrolled: 1-line block ×16, first 2 shown]
.LBB0_11:
	s_or_b32 exec_lo, exec_lo, s0
	v_add_nc_u32_e32 v205, 0x550, v226
	v_add_nc_u32_e32 v204, 0xaa0, v226
	s_waitcnt lgkmcnt(0)
	s_barrier
	buffer_gl0_inv
	s_and_saveexec_b32 s33, vcc_lo
	s_cbranch_execz .LBB0_13
; %bb.12:
	v_add_f64 v[0:1], v[146:147], v[150:151]
	v_add_f64 v[2:3], v[144:145], v[148:149]
	v_add_f64 v[6:7], v[148:149], -v[213:214]
	s_mov_b32 s24, 0x6c9a05f6
	s_mov_b32 s25, 0xbfe9895b
	v_add_f64 v[8:9], v[150:151], -v[215:216]
	v_add_f64 v[10:11], v[150:151], v[215:216]
	s_mov_b32 s8, 0x6ed5f1bb
	s_mov_b32 s9, 0xbfe348c8
	v_add_f64 v[12:13], v[148:149], v[213:214]
	s_mov_b32 s46, 0x923c349f
	s_mov_b32 s47, 0xbfeec746
	;; [unrolled: 1-line block ×4, first 2 shown]
	v_add_f64 v[210:211], v[152:153], -v[221:222]
	s_mov_b32 s26, 0xeb564b22
	s_mov_b32 s27, 0x3fefdd0d
	;; [unrolled: 1-line block ×6, first 2 shown]
	v_add_f64 v[206:207], v[200:201], -v[184:185]
	v_add_f64 v[204:205], v[202:203], v[186:187]
	v_add_f64 v[208:209], v[188:189], -v[196:197]
	s_mov_b32 s44, 0x7c9e640b
	s_mov_b32 s45, 0x3feca52d
	;; [unrolled: 1-line block ×14, first 2 shown]
	v_add_f64 v[0:1], v[0:1], v[154:155]
	v_add_f64 v[2:3], v[2:3], v[152:153]
	v_mul_f64 v[16:17], v[6:7], s[24:25]
	v_mul_f64 v[18:19], v[6:7], s[46:47]
	v_add_f64 v[152:153], v[152:153], v[221:222]
	v_mul_f64 v[20:21], v[6:7], s[42:43]
	v_mul_f64 v[22:23], v[6:7], s[36:37]
	;; [unrolled: 1-line block ×5, first 2 shown]
	s_mov_b32 s40, 0x5d8e7cdc
	s_mov_b32 s31, 0xbfc7851a
	;; [unrolled: 1-line block ×6, first 2 shown]
	v_mul_f64 v[14:15], v[6:7], s[38:39]
	s_mov_b32 s2, 0x910ea3b9
	s_mov_b32 s0, 0x7faef3
	;; [unrolled: 1-line block ×6, first 2 shown]
	v_mul_f64 v[32:33], v[206:207], s[26:27]
	s_mov_b32 s51, 0x3fe9895b
	s_mov_b32 s50, s24
	;; [unrolled: 1-line block ×4, first 2 shown]
	v_mul_f64 v[36:37], v[208:209], s[30:31]
	v_mul_f64 v[42:43], v[210:211], s[48:49]
	;; [unrolled: 1-line block ×10, first 2 shown]
	v_add_f64 v[0:1], v[0:1], v[158:159]
	v_add_f64 v[2:3], v[2:3], v[156:157]
	v_fma_f64 v[30:31], v[10:11], s[8:9], v[16:17]
	v_fma_f64 v[16:17], v[10:11], s[8:9], -v[16:17]
	v_fma_f64 v[148:149], v[10:11], s[10:11], v[18:19]
	v_fma_f64 v[150:151], v[10:11], s[16:17], v[20:21]
	v_fma_f64 v[18:19], v[10:11], s[10:11], -v[18:19]
	v_fma_f64 v[243:244], v[12:13], s[18:19], v[227:228]
	v_fma_f64 v[227:228], v[12:13], s[18:19], -v[227:228]
	;; [unrolled: 2-line block ×3, first 2 shown]
	v_fma_f64 v[20:21], v[10:11], s[16:17], -v[20:21]
	v_mul_f64 v[118:119], v[210:211], s[30:31]
	v_mov_b32_e32 v132, v253
	v_mov_b32_e32 v134, v254
	v_fma_f64 v[28:29], v[10:11], s[2:3], v[14:15]
	v_fma_f64 v[14:15], v[10:11], s[2:3], -v[14:15]
	v_add_f64 v[0:1], v[0:1], v[162:163]
	v_add_f64 v[2:3], v[2:3], v[160:161]
	;; [unrolled: 1-line block ×10, first 2 shown]
	s_delay_alu instid0(VALU_DEP_2) | instskip(NEXT) | instid1(VALU_DEP_2)
	v_add_f64 v[0:1], v[0:1], v[170:171]
	v_add_f64 v[2:3], v[2:3], v[168:169]
	s_delay_alu instid0(VALU_DEP_2) | instskip(NEXT) | instid1(VALU_DEP_2)
	v_add_f64 v[0:1], v[0:1], v[190:191]
	v_add_f64 v[2:3], v[2:3], v[188:189]
	;; [unrolled: 3-line block ×3, first 2 shown]
	v_add_f64 v[200:201], v[200:201], v[184:185]
	v_add_f64 v[202:203], v[202:203], -v[186:187]
	s_delay_alu instid0(VALU_DEP_4) | instskip(NEXT) | instid1(VALU_DEP_4)
	v_add_f64 v[0:1], v[0:1], v[186:187]
	v_add_f64 v[2:3], v[2:3], v[184:185]
	;; [unrolled: 1-line block ×4, first 2 shown]
	v_add_f64 v[190:191], v[190:191], -v[198:199]
	v_add_f64 v[188:189], v[170:171], v[194:195]
	v_mul_f64 v[34:35], v[202:203], s[26:27]
	v_mul_f64 v[40:41], v[202:203], s[44:45]
	;; [unrolled: 1-line block ×6, first 2 shown]
	v_add_f64 v[0:1], v[0:1], v[198:199]
	v_add_f64 v[2:3], v[2:3], v[196:197]
	v_add_f64 v[198:199], v[170:171], -v[194:195]
	v_add_f64 v[170:171], v[166:167], v[182:183]
	v_add_f64 v[196:197], v[168:169], -v[192:193]
	v_add_f64 v[168:169], v[168:169], v[192:193]
	v_mul_f64 v[38:39], v[190:191], s[30:31]
	v_mul_f64 v[62:63], v[190:191], s[38:39]
	;; [unrolled: 1-line block ×4, first 2 shown]
	v_add_f64 v[0:1], v[0:1], v[194:195]
	v_add_f64 v[2:3], v[2:3], v[192:193]
	v_add_f64 v[194:195], v[166:167], -v[182:183]
	v_add_f64 v[166:167], v[162:163], v[178:179]
	v_add_f64 v[192:193], v[164:165], -v[180:181]
	v_add_f64 v[164:165], v[164:165], v[180:181]
	v_mul_f64 v[56:57], v[196:197], s[24:25]
	v_mul_f64 v[58:59], v[198:199], s[24:25]
	;; [unrolled: 1-line block ×6, first 2 shown]
	v_add_f64 v[0:1], v[0:1], v[182:183]
	v_add_f64 v[2:3], v[2:3], v[180:181]
	v_add_f64 v[182:183], v[162:163], -v[178:179]
	v_add_f64 v[180:181], v[160:161], -v[176:177]
	v_add_f64 v[160:161], v[160:161], v[176:177]
	v_add_f64 v[162:163], v[158:159], v[174:175]
	v_add_f64 v[158:159], v[158:159], -v[174:175]
	v_mul_f64 v[52:53], v[192:193], s[46:47]
	v_mul_f64 v[54:55], v[194:195], s[46:47]
	;; [unrolled: 1-line block ×4, first 2 shown]
	v_add_f64 v[0:1], v[0:1], v[178:179]
	v_add_f64 v[2:3], v[2:3], v[176:177]
	v_add_f64 v[178:179], v[154:155], -v[223:224]
	v_add_f64 v[154:155], v[154:155], v[223:224]
	v_add_f64 v[176:177], v[156:157], -v[172:173]
	v_add_f64 v[156:157], v[156:157], v[172:173]
	v_mul_f64 v[46:47], v[158:159], s[36:37]
	v_mul_f64 v[48:49], v[180:181], s[42:43]
	;; [unrolled: 1-line block ×9, first 2 shown]
	v_add_f64 v[0:1], v[0:1], v[174:175]
	v_add_f64 v[2:3], v[2:3], v[172:173]
	v_fma_f64 v[172:173], v[10:11], s[18:19], -v[22:23]
	v_fma_f64 v[22:23], v[10:11], s[18:19], v[22:23]
	v_fma_f64 v[174:175], v[10:11], s[20:21], -v[24:25]
	v_fma_f64 v[24:25], v[10:11], s[20:21], v[24:25]
	v_mul_f64 v[44:45], v[176:177], s[36:37]
	v_mul_f64 v[70:71], v[178:179], s[42:43]
	v_fma_f64 v[130:131], v[166:167], s[18:19], -v[128:129]
	v_add_f64 v[0:1], v[0:1], v[223:224]
	v_add_f64 v[4:5], v[2:3], v[221:222]
	v_mul_f64 v[221:222], v[8:9], s[46:47]
	v_mul_f64 v[223:224], v[8:9], s[42:43]
	v_add_f64 v[172:173], v[146:147], v[172:173]
	v_add_f64 v[2:3], v[0:1], v[215:216]
	;; [unrolled: 1-line block ×3, first 2 shown]
	v_mul_f64 v[216:217], v[8:9], s[24:25]
	v_fma_f64 v[239:240], v[12:13], s[10:11], -v[221:222]
	v_fma_f64 v[241:242], v[12:13], s[16:17], -v[223:224]
	v_mul_f64 v[4:5], v[6:7], s[30:31]
	v_mul_f64 v[6:7], v[6:7], s[28:29]
	;; [unrolled: 1-line block ×3, first 2 shown]
	v_fma_f64 v[221:222], v[12:13], s[10:11], v[221:222]
	v_fma_f64 v[223:224], v[12:13], s[16:17], v[223:224]
	scratch_store_b128 off, v[0:3], off offset:540 ; 16-byte Folded Spill
	v_fma_f64 v[237:238], v[12:13], s[8:9], -v[216:217]
	v_fma_f64 v[216:217], v[12:13], s[8:9], v[216:217]
	v_add_f64 v[0:1], v[146:147], v[16:17]
	v_fma_f64 v[26:27], v[10:11], s[0:1], v[4:5]
	v_fma_f64 v[4:5], v[10:11], s[0:1], -v[4:5]
	v_fma_f64 v[212:213], v[10:11], s[22:23], -v[6:7]
	v_fma_f64 v[6:7], v[10:11], s[22:23], v[6:7]
	v_mul_f64 v[10:11], v[8:9], s[30:31]
	v_mul_f64 v[8:9], v[8:9], s[28:29]
	v_fma_f64 v[235:236], v[12:13], s[2:3], -v[214:215]
	v_fma_f64 v[214:215], v[12:13], s[2:3], v[214:215]
	v_add_f64 v[124:125], v[144:145], v[221:222]
	v_add_f64 v[223:224], v[144:145], v[223:224]
	;; [unrolled: 1-line block ×3, first 2 shown]
	scratch_store_b64 off, v[0:1], off offset:660 ; 8-byte Folded Spill
	v_add_f64 v[0:1], v[144:145], v[216:217]
	v_add_f64 v[16:17], v[146:147], v[212:213]
	v_fma_f64 v[233:234], v[12:13], s[0:1], -v[10:11]
	v_fma_f64 v[247:248], v[12:13], s[22:23], v[8:9]
	v_fma_f64 v[8:9], v[12:13], s[22:23], -v[8:9]
	v_fma_f64 v[10:11], v[12:13], s[0:1], v[10:11]
	v_add_f64 v[12:13], v[146:147], v[26:27]
	v_add_f64 v[235:236], v[144:145], v[235:236]
	;; [unrolled: 1-line block ×3, first 2 shown]
	scratch_store_b64 off, v[0:1], off offset:652 ; 8-byte Folded Spill
	v_add_f64 v[0:1], v[146:147], v[148:149]
	v_add_f64 v[26:27], v[144:145], v[233:234]
	;; [unrolled: 1-line block ×5, first 2 shown]
	scratch_store_b64 off, v[0:1], off offset:644 ; 8-byte Folded Spill
	v_add_f64 v[0:1], v[144:145], v[239:240]
	scratch_store_b64 off, v[0:1], off offset:636 ; 8-byte Folded Spill
	v_add_f64 v[0:1], v[146:147], v[150:151]
	;; [unrolled: 2-line block ×3, first 2 shown]
	s_clause 0x1
	scratch_store_b64 off, v[0:1], off offset:620
	scratch_store_b32 off, v255, off offset:536
	v_add_f64 v[0:1], v[146:147], v[22:23]
	v_mul_f64 v[22:23], v[176:177], s[38:39]
	v_mov_b32_e32 v255, v133
	v_mov_b32_e32 v133, v218
	v_mov_b32_e32 v135, v219
	v_add_f64 v[218:219], v[146:147], v[20:21]
	v_add_f64 v[20:21], v[146:147], v[174:175]
	scratch_store_b64 off, v[0:1], off offset:612 ; 8-byte Folded Spill
	v_add_f64 v[0:1], v[144:145], v[227:228]
	scratch_store_b64 off, v[0:1], off offset:604 ; 8-byte Folded Spill
	v_add_f64 v[0:1], v[146:147], v[24:25]
	v_fma_f64 v[24:25], v[162:163], s[2:3], v[22:23]
	scratch_store_b64 off, v[0:1], off offset:596 ; 8-byte Folded Spill
	v_add_f64 v[0:1], v[144:145], v[229:230]
	scratch_store_b64 off, v[0:1], off offset:588 ; 8-byte Folded Spill
	v_add_f64 v[0:1], v[146:147], v[6:7]
	;; [unrolled: 2-line block ×3, first 2 shown]
	v_mul_f64 v[8:9], v[210:211], s[40:41]
	scratch_store_b64 off, v[0:1], off offset:572 ; 8-byte Folded Spill
	v_fma_f64 v[4:5], v[154:155], s[22:23], v[8:9]
	v_fma_f64 v[8:9], v[154:155], s[22:23], -v[8:9]
	s_delay_alu instid0(VALU_DEP_2) | instskip(SKIP_1) | instid1(VALU_DEP_3)
	v_add_f64 v[4:5], v[4:5], v[12:13]
	v_mul_f64 v[12:13], v[178:179], s[40:41]
	v_add_f64 v[8:9], v[8:9], v[233:234]
	v_mul_f64 v[233:234], v[190:191], s[34:35]
	s_delay_alu instid0(VALU_DEP_4) | instskip(NEXT) | instid1(VALU_DEP_4)
	v_add_f64 v[4:5], v[24:25], v[4:5]
	v_fma_f64 v[6:7], v[152:153], s[22:23], -v[12:13]
	v_mul_f64 v[24:25], v[158:159], s[38:39]
	v_fma_f64 v[12:13], v[152:153], s[22:23], v[12:13]
	s_delay_alu instid0(VALU_DEP_3) | instskip(NEXT) | instid1(VALU_DEP_3)
	v_add_f64 v[6:7], v[6:7], v[26:27]
	v_fma_f64 v[26:27], v[156:157], s[2:3], -v[24:25]
	s_delay_alu instid0(VALU_DEP_3) | instskip(SKIP_2) | instid1(VALU_DEP_4)
	v_add_f64 v[10:11], v[12:13], v[10:11]
	v_fma_f64 v[12:13], v[162:163], s[2:3], -v[22:23]
	v_fma_f64 v[22:23], v[200:201], s[16:17], v[34:35]
	v_add_f64 v[6:7], v[26:27], v[6:7]
	v_mul_f64 v[26:27], v[180:181], s[34:35]
	s_delay_alu instid0(VALU_DEP_4) | instskip(SKIP_2) | instid1(VALU_DEP_4)
	v_add_f64 v[8:9], v[12:13], v[8:9]
	v_fma_f64 v[12:13], v[156:157], s[2:3], v[24:25]
	v_mul_f64 v[24:25], v[176:177], s[42:43]
	v_fma_f64 v[144:145], v[166:167], s[20:21], v[26:27]
	s_delay_alu instid0(VALU_DEP_3) | instskip(SKIP_1) | instid1(VALU_DEP_4)
	v_add_f64 v[10:11], v[12:13], v[10:11]
	v_fma_f64 v[12:13], v[166:167], s[20:21], -v[26:27]
	v_fma_f64 v[26:27], v[162:163], s[16:17], v[24:25]
	s_delay_alu instid0(VALU_DEP_4) | instskip(SKIP_1) | instid1(VALU_DEP_4)
	v_add_f64 v[4:5], v[144:145], v[4:5]
	v_mul_f64 v[144:145], v[182:183], s[34:35]
	v_add_f64 v[8:9], v[12:13], v[8:9]
	s_delay_alu instid0(VALU_DEP_2) | instskip(SKIP_1) | instid1(VALU_DEP_2)
	v_fma_f64 v[146:147], v[160:161], s[20:21], -v[144:145]
	v_fma_f64 v[12:13], v[160:161], s[20:21], v[144:145]
	v_add_f64 v[6:7], v[146:147], v[6:7]
	v_mul_f64 v[146:147], v[192:193], s[24:25]
	s_delay_alu instid0(VALU_DEP_3) | instskip(NEXT) | instid1(VALU_DEP_2)
	v_add_f64 v[10:11], v[12:13], v[10:11]
	v_fma_f64 v[148:149], v[170:171], s[8:9], v[146:147]
	v_fma_f64 v[12:13], v[170:171], s[8:9], -v[146:147]
	s_delay_alu instid0(VALU_DEP_2) | instskip(SKIP_1) | instid1(VALU_DEP_3)
	v_add_f64 v[4:5], v[148:149], v[4:5]
	v_mul_f64 v[148:149], v[194:195], s[24:25]
	v_add_f64 v[8:9], v[12:13], v[8:9]
	s_delay_alu instid0(VALU_DEP_2) | instskip(SKIP_1) | instid1(VALU_DEP_2)
	v_fma_f64 v[150:151], v[164:165], s[8:9], -v[148:149]
	v_fma_f64 v[12:13], v[164:165], s[8:9], v[148:149]
	v_add_f64 v[6:7], v[150:151], v[6:7]
	v_mul_f64 v[150:151], v[196:197], s[44:45]
	s_delay_alu instid0(VALU_DEP_3) | instskip(NEXT) | instid1(VALU_DEP_2)
	v_add_f64 v[10:11], v[12:13], v[10:11]
	v_fma_f64 v[229:230], v[188:189], s[18:19], v[150:151]
	v_fma_f64 v[12:13], v[188:189], s[18:19], -v[150:151]
	s_delay_alu instid0(VALU_DEP_2) | instskip(SKIP_1) | instid1(VALU_DEP_3)
	v_add_f64 v[4:5], v[229:230], v[4:5]
	v_mul_f64 v[229:230], v[198:199], s[44:45]
	v_add_f64 v[8:9], v[12:13], v[8:9]
	s_delay_alu instid0(VALU_DEP_2) | instskip(SKIP_2) | instid1(VALU_DEP_3)
	v_fma_f64 v[212:213], v[168:169], s[18:19], -v[229:230]
	v_fma_f64 v[12:13], v[168:169], s[18:19], v[229:230]
	v_mul_f64 v[229:230], v[208:209], s[34:35]
	v_add_f64 v[6:7], v[212:213], v[6:7]
	v_mul_f64 v[212:213], v[208:209], s[46:47]
	s_delay_alu instid0(VALU_DEP_4) | instskip(NEXT) | instid1(VALU_DEP_2)
	v_add_f64 v[10:11], v[12:13], v[10:11]
	v_fma_f64 v[227:228], v[186:187], s[10:11], v[212:213]
	v_fma_f64 v[12:13], v[186:187], s[10:11], -v[212:213]
	v_mul_f64 v[212:213], v[196:197], s[30:31]
	s_delay_alu instid0(VALU_DEP_3) | instskip(SKIP_1) | instid1(VALU_DEP_4)
	v_add_f64 v[4:5], v[227:228], v[4:5]
	v_mul_f64 v[227:228], v[190:191], s[46:47]
	v_add_f64 v[8:9], v[12:13], v[8:9]
	s_delay_alu instid0(VALU_DEP_2) | instskip(SKIP_2) | instid1(VALU_DEP_3)
	v_fma_f64 v[12:13], v[184:185], s[10:11], v[227:228]
	v_fma_f64 v[174:175], v[184:185], s[10:11], -v[227:228]
	v_mul_f64 v[227:228], v[198:199], s[30:31]
	v_add_f64 v[10:11], v[12:13], v[10:11]
	v_fma_f64 v[12:13], v[204:205], s[16:17], -v[32:33]
	s_delay_alu instid0(VALU_DEP_4) | instskip(SKIP_1) | instid1(VALU_DEP_4)
	v_add_f64 v[174:175], v[174:175], v[6:7]
	v_fma_f64 v[6:7], v[204:205], s[16:17], v[32:33]
	v_add_f64 v[144:145], v[22:23], v[10:11]
	s_delay_alu instid0(VALU_DEP_4)
	v_add_f64 v[146:147], v[12:13], v[8:9]
	v_mul_f64 v[8:9], v[210:211], s[44:45]
	v_mul_f64 v[12:13], v[178:179], s[44:45]
	v_add_f64 v[2:3], v[6:7], v[4:5]
	v_fma_f64 v[4:5], v[200:201], s[16:17], -v[34:35]
	v_mul_f64 v[6:7], v[206:207], s[34:35]
	v_fma_f64 v[10:11], v[154:155], s[18:19], v[8:9]
	v_fma_f64 v[22:23], v[152:153], s[18:19], -v[12:13]
	v_fma_f64 v[8:9], v[154:155], s[18:19], -v[8:9]
	v_fma_f64 v[12:13], v[152:153], s[18:19], v[12:13]
	v_add_f64 v[0:1], v[4:5], v[174:175]
	v_mul_f64 v[174:175], v[194:195], s[28:29]
	v_add_f64 v[10:11], v[10:11], v[28:29]
	v_add_f64 v[22:23], v[22:23], v[235:236]
	;; [unrolled: 1-line block ×3, first 2 shown]
	v_fma_f64 v[14:15], v[162:163], s[16:17], -v[24:25]
	v_add_f64 v[12:13], v[12:13], v[249:250]
	v_mul_f64 v[235:236], v[206:207], s[46:47]
	v_mul_f64 v[249:250], v[198:199], s[48:49]
	scratch_store_b128 off, v[0:3], off offset:556 ; 16-byte Folded Spill
	v_mul_f64 v[0:1], v[206:207], s[44:45]
	v_mul_f64 v[2:3], v[178:179], s[48:49]
	s_mov_b32 s45, 0x3fc7851a
	s_mov_b32 s44, s30
	v_mul_f64 v[206:207], v[206:207], s[24:25]
	v_mul_f64 v[96:97], v[158:159], s[44:45]
	v_add_f64 v[10:11], v[26:27], v[10:11]
	v_mul_f64 v[26:27], v[158:159], s[42:43]
	v_add_f64 v[8:9], v[14:15], v[8:9]
	s_delay_alu instid0(VALU_DEP_2) | instskip(SKIP_1) | instid1(VALU_DEP_2)
	v_fma_f64 v[28:29], v[156:157], s[16:17], -v[26:27]
	v_fma_f64 v[14:15], v[156:157], s[16:17], v[26:27]
	v_add_f64 v[22:23], v[28:29], v[22:23]
	v_mul_f64 v[28:29], v[180:181], s[50:51]
	s_delay_alu instid0(VALU_DEP_3) | instskip(NEXT) | instid1(VALU_DEP_2)
	v_add_f64 v[12:13], v[14:15], v[12:13]
	v_fma_f64 v[32:33], v[166:167], s[8:9], v[28:29]
	v_fma_f64 v[14:15], v[166:167], s[8:9], -v[28:29]
	s_delay_alu instid0(VALU_DEP_2) | instskip(SKIP_1) | instid1(VALU_DEP_3)
	v_add_f64 v[10:11], v[32:33], v[10:11]
	v_mul_f64 v[32:33], v[182:183], s[50:51]
	v_add_f64 v[8:9], v[14:15], v[8:9]
	s_delay_alu instid0(VALU_DEP_2) | instskip(SKIP_2) | instid1(VALU_DEP_3)
	v_fma_f64 v[34:35], v[160:161], s[8:9], -v[32:33]
	v_fma_f64 v[14:15], v[160:161], s[8:9], v[32:33]
	v_mul_f64 v[32:33], v[210:211], s[52:53]
	v_add_f64 v[22:23], v[34:35], v[22:23]
	v_mul_f64 v[34:35], v[192:193], s[28:29]
	s_delay_alu instid0(VALU_DEP_4) | instskip(NEXT) | instid1(VALU_DEP_2)
	v_add_f64 v[12:13], v[14:15], v[12:13]
	v_fma_f64 v[148:149], v[170:171], s[22:23], v[34:35]
	v_fma_f64 v[14:15], v[170:171], s[22:23], -v[34:35]
	v_mul_f64 v[34:35], v[178:179], s[52:53]
	s_delay_alu instid0(VALU_DEP_3) | instskip(SKIP_1) | instid1(VALU_DEP_4)
	v_add_f64 v[10:11], v[148:149], v[10:11]
	v_fma_f64 v[148:149], v[164:165], s[22:23], -v[174:175]
	v_add_f64 v[8:9], v[14:15], v[8:9]
	v_fma_f64 v[14:15], v[164:165], s[22:23], v[174:175]
	v_mul_f64 v[174:175], v[176:177], s[28:29]
	s_delay_alu instid0(VALU_DEP_4) | instskip(SKIP_1) | instid1(VALU_DEP_4)
	v_add_f64 v[22:23], v[148:149], v[22:23]
	v_fma_f64 v[148:149], v[188:189], s[0:1], v[212:213]
	v_add_f64 v[12:13], v[14:15], v[12:13]
	v_fma_f64 v[14:15], v[188:189], s[0:1], -v[212:213]
	v_mul_f64 v[212:213], v[158:159], s[28:29]
	s_delay_alu instid0(VALU_DEP_4) | instskip(SKIP_1) | instid1(VALU_DEP_4)
	v_add_f64 v[10:11], v[148:149], v[10:11]
	v_fma_f64 v[148:149], v[168:169], s[0:1], -v[227:228]
	v_add_f64 v[8:9], v[14:15], v[8:9]
	v_fma_f64 v[14:15], v[168:169], s[0:1], v[227:228]
	v_mul_f64 v[227:228], v[180:181], s[38:39]
	s_delay_alu instid0(VALU_DEP_4) | instskip(SKIP_1) | instid1(VALU_DEP_4)
	v_add_f64 v[22:23], v[148:149], v[22:23]
	v_fma_f64 v[148:149], v[186:187], s[20:21], v[229:230]
	v_add_f64 v[12:13], v[14:15], v[12:13]
	v_fma_f64 v[14:15], v[186:187], s[20:21], -v[229:230]
	v_mul_f64 v[229:230], v[182:183], s[38:39]
	s_delay_alu instid0(VALU_DEP_4) | instskip(SKIP_1) | instid1(VALU_DEP_4)
	v_add_f64 v[10:11], v[148:149], v[10:11]
	v_fma_f64 v[148:149], v[184:185], s[20:21], -v[233:234]
	v_add_f64 v[8:9], v[14:15], v[8:9]
	v_fma_f64 v[14:15], v[184:185], s[20:21], v[233:234]
	v_mul_f64 v[233:234], v[192:193], s[26:27]
	s_delay_alu instid0(VALU_DEP_4) | instskip(SKIP_1) | instid1(VALU_DEP_4)
	v_add_f64 v[22:23], v[148:149], v[22:23]
	v_fma_f64 v[148:149], v[204:205], s[10:11], v[235:236]
	v_add_f64 v[12:13], v[14:15], v[12:13]
	v_fma_f64 v[14:15], v[204:205], s[10:11], -v[235:236]
	v_mul_f64 v[235:236], v[194:195], s[26:27]
	s_delay_alu instid0(VALU_DEP_4)
	v_add_f64 v[150:151], v[148:149], v[10:11]
	v_mul_f64 v[10:11], v[202:203], s[46:47]
	s_mov_b32 s47, 0x3fe0d888
	s_mov_b32 s46, s38
	v_mul_f64 v[202:203], v[202:203], s[24:25]
	v_mul_f64 v[78:79], v[192:193], s[46:47]
	;; [unrolled: 1-line block ×3, first 2 shown]
	s_delay_alu instid0(VALU_DEP_4) | instskip(NEXT) | instid1(VALU_DEP_1)
	v_fma_f64 v[148:149], v[200:201], s[10:11], -v[10:11]
	v_add_f64 v[148:149], v[148:149], v[22:23]
	v_fma_f64 v[22:23], v[200:201], s[10:11], v[10:11]
	v_add_f64 v[10:11], v[14:15], v[8:9]
	v_fma_f64 v[14:15], v[152:153], s[10:11], -v[34:35]
	v_fma_f64 v[34:35], v[152:153], s[10:11], v[34:35]
	s_delay_alu instid0(VALU_DEP_4)
	v_add_f64 v[8:9], v[22:23], v[12:13]
	v_fma_f64 v[12:13], v[154:155], s[10:11], v[32:33]
	v_fma_f64 v[22:23], v[162:163], s[22:23], v[174:175]
	v_add_f64 v[14:15], v[14:15], v[237:238]
	v_mul_f64 v[237:238], v[196:197], s[48:49]
	v_fma_f64 v[32:33], v[154:155], s[10:11], -v[32:33]
	v_add_f64 v[12:13], v[12:13], v[30:31]
	s_delay_alu instid0(VALU_DEP_1) | instskip(SKIP_1) | instid1(VALU_DEP_1)
	v_add_f64 v[12:13], v[22:23], v[12:13]
	v_fma_f64 v[22:23], v[156:157], s[22:23], -v[212:213]
	v_add_f64 v[14:15], v[22:23], v[14:15]
	v_fma_f64 v[22:23], v[166:167], s[2:3], v[227:228]
	s_delay_alu instid0(VALU_DEP_1) | instskip(SKIP_1) | instid1(VALU_DEP_1)
	v_add_f64 v[12:13], v[22:23], v[12:13]
	v_fma_f64 v[22:23], v[160:161], s[2:3], -v[229:230]
	v_add_f64 v[14:15], v[22:23], v[14:15]
	v_fma_f64 v[22:23], v[170:171], s[16:17], v[233:234]
	;; [unrolled: 5-line block ×4, first 2 shown]
	v_fma_f64 v[36:37], v[186:187], s[0:1], -v[36:37]
	s_delay_alu instid0(VALU_DEP_2) | instskip(SKIP_1) | instid1(VALU_DEP_1)
	v_add_f64 v[12:13], v[22:23], v[12:13]
	v_fma_f64 v[22:23], v[184:185], s[0:1], -v[38:39]
	v_add_f64 v[22:23], v[22:23], v[14:15]
	v_fma_f64 v[14:15], v[204:205], s[18:19], v[0:1]
	v_fma_f64 v[0:1], v[204:205], s[18:19], -v[0:1]
	s_delay_alu instid0(VALU_DEP_2) | instskip(SKIP_1) | instid1(VALU_DEP_1)
	v_add_f64 v[14:15], v[14:15], v[12:13]
	v_fma_f64 v[12:13], v[200:201], s[18:19], -v[40:41]
	v_add_f64 v[12:13], v[12:13], v[22:23]
	v_fma_f64 v[22:23], v[154:155], s[20:21], -v[42:43]
	s_delay_alu instid0(VALU_DEP_1) | instskip(SKIP_2) | instid1(VALU_DEP_2)
	v_add_f64 v[16:17], v[22:23], v[16:17]
	v_fma_f64 v[22:23], v[152:153], s[20:21], v[2:3]
	v_fma_f64 v[2:3], v[152:153], s[20:21], -v[2:3]
	v_add_f64 v[18:19], v[22:23], v[18:19]
	v_fma_f64 v[22:23], v[162:163], s[18:19], -v[44:45]
	s_delay_alu instid0(VALU_DEP_1) | instskip(SKIP_1) | instid1(VALU_DEP_1)
	v_add_f64 v[16:17], v[22:23], v[16:17]
	v_fma_f64 v[22:23], v[156:157], s[18:19], v[46:47]
	v_add_f64 v[18:19], v[22:23], v[18:19]
	v_fma_f64 v[22:23], v[166:167], s[16:17], -v[48:49]
	s_delay_alu instid0(VALU_DEP_1) | instskip(SKIP_1) | instid1(VALU_DEP_1)
	v_add_f64 v[16:17], v[22:23], v[16:17]
	v_fma_f64 v[22:23], v[160:161], s[16:17], v[50:51]
	;; [unrolled: 5-line block ×7, first 2 shown]
	v_add_f64 v[22:23], v[22:23], v[245:246]
	v_mul_f64 v[245:246], v[176:177], s[24:25]
	s_delay_alu instid0(VALU_DEP_1) | instskip(NEXT) | instid1(VALU_DEP_1)
	v_fma_f64 v[24:25], v[162:163], s[8:9], -v[245:246]
	v_add_f64 v[20:21], v[24:25], v[20:21]
	v_fma_f64 v[24:25], v[156:157], s[8:9], v[72:73]
	s_delay_alu instid0(VALU_DEP_1) | instskip(SKIP_1) | instid1(VALU_DEP_1)
	v_add_f64 v[22:23], v[24:25], v[22:23]
	v_fma_f64 v[24:25], v[166:167], s[0:1], -v[74:75]
	v_add_f64 v[20:21], v[24:25], v[20:21]
	v_fma_f64 v[24:25], v[160:161], s[0:1], v[76:77]
	s_delay_alu instid0(VALU_DEP_1) | instskip(SKIP_1) | instid1(VALU_DEP_1)
	v_add_f64 v[22:23], v[24:25], v[22:23]
	;; [unrolled: 5-line block ×6, first 2 shown]
	v_fma_f64 v[24:25], v[154:155], s[8:9], -v[94:95]
	v_add_f64 v[24:25], v[24:25], v[172:173]
	v_mul_f64 v[172:173], v[178:179], s[24:25]
	s_delay_alu instid0(VALU_DEP_1) | instskip(NEXT) | instid1(VALU_DEP_1)
	v_fma_f64 v[26:27], v[152:153], s[8:9], v[172:173]
	v_add_f64 v[26:27], v[26:27], v[243:244]
	v_mul_f64 v[243:244], v[176:177], s[44:45]
	s_delay_alu instid0(VALU_DEP_1) | instskip(NEXT) | instid1(VALU_DEP_1)
	v_fma_f64 v[28:29], v[162:163], s[0:1], -v[243:244]
	v_add_f64 v[24:25], v[28:29], v[24:25]
	v_fma_f64 v[28:29], v[156:157], s[0:1], v[96:97]
	s_delay_alu instid0(VALU_DEP_1) | instskip(SKIP_1) | instid1(VALU_DEP_1)
	v_add_f64 v[26:27], v[28:29], v[26:27]
	v_fma_f64 v[28:29], v[166:167], s[10:11], -v[98:99]
	v_add_f64 v[24:25], v[28:29], v[24:25]
	v_fma_f64 v[28:29], v[160:161], s[10:11], v[100:101]
	s_delay_alu instid0(VALU_DEP_1) | instskip(SKIP_1) | instid1(VALU_DEP_1)
	v_add_f64 v[26:27], v[28:29], v[26:27]
	;; [unrolled: 5-line block ×6, first 2 shown]
	v_fma_f64 v[28:29], v[154:155], s[0:1], -v[118:119]
	v_add_f64 v[28:29], v[28:29], v[218:219]
	v_mul_f64 v[218:219], v[178:179], s[30:31]
	s_delay_alu instid0(VALU_DEP_1) | instskip(NEXT) | instid1(VALU_DEP_1)
	v_fma_f64 v[30:31], v[152:153], s[0:1], v[218:219]
	v_add_f64 v[30:31], v[30:31], v[223:224]
	v_mul_f64 v[223:224], v[176:177], s[52:53]
	s_delay_alu instid0(VALU_DEP_1) | instskip(NEXT) | instid1(VALU_DEP_1)
	v_fma_f64 v[247:248], v[162:163], s[10:11], -v[223:224]
	v_add_f64 v[28:29], v[247:248], v[28:29]
	v_mul_f64 v[247:248], v[158:159], s[52:53]
	s_delay_alu instid0(VALU_DEP_1) | instskip(NEXT) | instid1(VALU_DEP_1)
	v_fma_f64 v[241:242], v[156:157], s[10:11], v[247:248]
	v_add_f64 v[30:31], v[241:242], v[30:31]
	v_mul_f64 v[241:242], v[180:181], s[40:41]
	s_delay_alu instid0(VALU_DEP_1) | instskip(NEXT) | instid1(VALU_DEP_1)
	v_fma_f64 v[239:240], v[166:167], s[22:23], -v[241:242]
	v_add_f64 v[28:29], v[239:240], v[28:29]
	v_mul_f64 v[239:240], v[182:183], s[40:41]
	s_delay_alu instid0(VALU_DEP_1) | instskip(NEXT) | instid1(VALU_DEP_1)
	v_fma_f64 v[216:217], v[160:161], s[22:23], v[239:240]
	v_add_f64 v[30:31], v[216:217], v[30:31]
	v_mul_f64 v[216:217], v[192:193], s[36:37]
	v_mul_f64 v[192:193], v[192:193], s[30:31]
	s_delay_alu instid0(VALU_DEP_2) | instskip(NEXT) | instid1(VALU_DEP_1)
	v_fma_f64 v[231:232], v[170:171], s[18:19], -v[216:217]
	v_add_f64 v[28:29], v[231:232], v[28:29]
	v_mul_f64 v[231:232], v[194:195], s[36:37]
	v_mul_f64 v[194:195], v[194:195], s[30:31]
	s_delay_alu instid0(VALU_DEP_2) | instskip(NEXT) | instid1(VALU_DEP_1)
	v_fma_f64 v[221:222], v[164:165], s[18:19], v[231:232]
	v_add_f64 v[30:31], v[221:222], v[30:31]
	v_mul_f64 v[221:222], v[196:197], s[38:39]
	v_mul_f64 v[196:197], v[196:197], s[26:27]
	s_delay_alu instid0(VALU_DEP_2) | instskip(NEXT) | instid1(VALU_DEP_1)
	v_fma_f64 v[214:215], v[188:189], s[2:3], -v[221:222]
	v_add_f64 v[28:29], v[214:215], v[28:29]
	v_mul_f64 v[214:215], v[198:199], s[38:39]
	v_mul_f64 v[198:199], v[198:199], s[26:27]
	s_delay_alu instid0(VALU_DEP_2) | instskip(NEXT) | instid1(VALU_DEP_1)
	v_fma_f64 v[251:252], v[168:169], s[2:3], v[214:215]
	v_add_f64 v[30:31], v[251:252], v[30:31]
	v_mul_f64 v[251:252], v[208:209], s[50:51]
	v_mul_f64 v[208:209], v[208:209], s[28:29]
	s_delay_alu instid0(VALU_DEP_2) | instskip(NEXT) | instid1(VALU_DEP_1)
	v_fma_f64 v[253:254], v[186:187], s[8:9], -v[251:252]
	v_add_f64 v[28:29], v[253:254], v[28:29]
	v_mul_f64 v[253:254], v[190:191], s[50:51]
	v_mul_f64 v[190:191], v[190:191], s[28:29]
	s_delay_alu instid0(VALU_DEP_2) | instskip(NEXT) | instid1(VALU_DEP_1)
	v_fma_f64 v[4:5], v[184:185], s[8:9], v[253:254]
	v_add_f64 v[4:5], v[4:5], v[30:31]
	v_fma_f64 v[30:31], v[204:205], s[20:21], -v[6:7]
	v_fma_f64 v[6:7], v[204:205], s[20:21], v[6:7]
	s_delay_alu instid0(VALU_DEP_2) | instskip(SKIP_1) | instid1(VALU_DEP_1)
	v_add_f64 v[30:31], v[30:31], v[28:29]
	v_fma_f64 v[28:29], v[200:201], s[20:21], v[120:121]
	v_add_f64 v[28:29], v[28:29], v[4:5]
	v_mul_f64 v[4:5], v[210:211], s[46:47]
	v_mul_f64 v[210:211], v[178:179], s[46:47]
	s_delay_alu instid0(VALU_DEP_2) | instskip(NEXT) | instid1(VALU_DEP_2)
	v_fma_f64 v[122:123], v[154:155], s[2:3], -v[4:5]
	v_fma_f64 v[178:179], v[152:153], s[2:3], v[210:211]
	s_delay_alu instid0(VALU_DEP_2) | instskip(NEXT) | instid1(VALU_DEP_2)
	v_add_f64 v[122:123], v[122:123], v[126:127]
	v_add_f64 v[178:179], v[178:179], v[124:125]
	v_mul_f64 v[124:125], v[176:177], s[34:35]
	s_delay_alu instid0(VALU_DEP_1) | instskip(NEXT) | instid1(VALU_DEP_1)
	v_fma_f64 v[126:127], v[162:163], s[20:21], -v[124:125]
	v_add_f64 v[122:123], v[126:127], v[122:123]
	v_mul_f64 v[126:127], v[158:159], s[34:35]
	s_delay_alu instid0(VALU_DEP_2) | instskip(NEXT) | instid1(VALU_DEP_2)
	v_add_f64 v[122:123], v[130:131], v[122:123]
	v_fma_f64 v[158:159], v[156:157], s[20:21], v[126:127]
	v_mul_f64 v[130:131], v[182:183], s[36:37]
	s_delay_alu instid0(VALU_DEP_2) | instskip(NEXT) | instid1(VALU_DEP_2)
	v_add_f64 v[158:159], v[158:159], v[178:179]
	v_fma_f64 v[176:177], v[160:161], s[18:19], v[130:131]
	s_delay_alu instid0(VALU_DEP_1) | instskip(SKIP_1) | instid1(VALU_DEP_1)
	v_add_f64 v[158:159], v[176:177], v[158:159]
	v_fma_f64 v[176:177], v[170:171], s[0:1], -v[192:193]
	v_add_f64 v[122:123], v[176:177], v[122:123]
	v_fma_f64 v[176:177], v[164:165], s[0:1], v[194:195]
	s_delay_alu instid0(VALU_DEP_1) | instskip(SKIP_1) | instid1(VALU_DEP_1)
	v_add_f64 v[158:159], v[176:177], v[158:159]
	v_fma_f64 v[176:177], v[188:189], s[16:17], -v[196:197]
	v_add_f64 v[122:123], v[176:177], v[122:123]
	v_fma_f64 v[176:177], v[168:169], s[16:17], v[198:199]
	s_delay_alu instid0(VALU_DEP_1) | instskip(SKIP_1) | instid1(VALU_DEP_1)
	v_add_f64 v[158:159], v[176:177], v[158:159]
	v_fma_f64 v[176:177], v[186:187], s[22:23], -v[208:209]
	v_add_f64 v[122:123], v[176:177], v[122:123]
	v_fma_f64 v[176:177], v[184:185], s[22:23], v[190:191]
	s_delay_alu instid0(VALU_DEP_1) | instskip(SKIP_1) | instid1(VALU_DEP_1)
	v_add_f64 v[158:159], v[176:177], v[158:159]
	v_fma_f64 v[176:177], v[204:205], s[8:9], -v[206:207]
	v_add_f64 v[178:179], v[176:177], v[122:123]
	v_fma_f64 v[122:123], v[200:201], s[8:9], v[202:203]
	s_delay_alu instid0(VALU_DEP_1)
	v_add_f64 v[176:177], v[122:123], v[158:159]
	scratch_load_b64 v[122:123], off, off offset:660 ; 8-byte Folded Reload
	s_waitcnt vmcnt(0)
	v_add_f64 v[32:33], v[32:33], v[122:123]
	scratch_load_b64 v[122:123], off, off offset:652 ; 8-byte Folded Reload
	s_waitcnt vmcnt(0)
	v_add_f64 v[34:35], v[34:35], v[122:123]
	v_fma_f64 v[122:123], v[162:163], s[22:23], -v[174:175]
	s_delay_alu instid0(VALU_DEP_1) | instskip(SKIP_1) | instid1(VALU_DEP_1)
	v_add_f64 v[32:33], v[122:123], v[32:33]
	v_fma_f64 v[122:123], v[156:157], s[22:23], v[212:213]
	v_add_f64 v[34:35], v[122:123], v[34:35]
	v_fma_f64 v[122:123], v[166:167], s[2:3], -v[227:228]
	s_delay_alu instid0(VALU_DEP_1) | instskip(SKIP_1) | instid1(VALU_DEP_1)
	v_add_f64 v[32:33], v[122:123], v[32:33]
	v_fma_f64 v[122:123], v[160:161], s[2:3], v[229:230]
	;; [unrolled: 5-line block ×3, first 2 shown]
	v_add_f64 v[34:35], v[122:123], v[34:35]
	v_fma_f64 v[122:123], v[188:189], s[20:21], -v[237:238]
	s_delay_alu instid0(VALU_DEP_1) | instskip(SKIP_1) | instid1(VALU_DEP_2)
	v_add_f64 v[32:33], v[122:123], v[32:33]
	v_fma_f64 v[122:123], v[168:169], s[20:21], v[249:250]
	v_add_f64 v[32:33], v[36:37], v[32:33]
	s_delay_alu instid0(VALU_DEP_2) | instskip(SKIP_1) | instid1(VALU_DEP_3)
	v_add_f64 v[34:35], v[122:123], v[34:35]
	v_fma_f64 v[36:37], v[184:185], s[0:1], v[38:39]
	v_add_f64 v[182:183], v[0:1], v[32:33]
	v_fma_f64 v[0:1], v[154:155], s[2:3], v[4:5]
	s_clause 0x1
	scratch_load_b64 v[4:5], off, off offset:644
	scratch_load_b64 v[32:33], off, off offset:636
	v_add_f64 v[34:35], v[36:37], v[34:35]
	v_fma_f64 v[36:37], v[200:201], s[18:19], v[40:41]
	s_delay_alu instid0(VALU_DEP_1)
	v_add_f64 v[180:181], v[36:37], v[34:35]
	v_fma_f64 v[34:35], v[200:201], s[8:9], -v[202:203]
	s_waitcnt vmcnt(1)
	v_add_f64 v[0:1], v[0:1], v[4:5]
	v_fma_f64 v[4:5], v[152:153], s[2:3], -v[210:211]
	s_waitcnt vmcnt(0)
	s_delay_alu instid0(VALU_DEP_1) | instskip(SKIP_1) | instid1(VALU_DEP_1)
	v_add_f64 v[4:5], v[4:5], v[32:33]
	v_fma_f64 v[32:33], v[162:163], s[20:21], v[124:125]
	v_add_f64 v[0:1], v[32:33], v[0:1]
	v_fma_f64 v[32:33], v[156:157], s[20:21], -v[126:127]
	s_delay_alu instid0(VALU_DEP_1) | instskip(SKIP_1) | instid1(VALU_DEP_1)
	v_add_f64 v[4:5], v[32:33], v[4:5]
	v_fma_f64 v[32:33], v[166:167], s[18:19], v[128:129]
	v_add_f64 v[0:1], v[32:33], v[0:1]
	v_fma_f64 v[32:33], v[160:161], s[18:19], -v[130:131]
	;; [unrolled: 5-line block ×5, first 2 shown]
	s_delay_alu instid0(VALU_DEP_1) | instskip(SKIP_1) | instid1(VALU_DEP_2)
	v_add_f64 v[4:5], v[32:33], v[4:5]
	v_fma_f64 v[32:33], v[204:205], s[8:9], v[206:207]
	v_add_f64 v[190:191], v[34:35], v[4:5]
	scratch_load_b64 v[4:5], off, off offset:628 ; 8-byte Folded Reload
	v_add_f64 v[192:193], v[32:33], v[0:1]
	v_fma_f64 v[0:1], v[154:155], s[0:1], v[118:119]
	s_waitcnt vmcnt(0)
	s_delay_alu instid0(VALU_DEP_1) | instskip(SKIP_1) | instid1(VALU_DEP_1)
	v_add_f64 v[0:1], v[0:1], v[4:5]
	v_fma_f64 v[4:5], v[162:163], s[10:11], v[223:224]
	v_add_f64 v[0:1], v[4:5], v[0:1]
	v_fma_f64 v[4:5], v[166:167], s[22:23], v[241:242]
	s_delay_alu instid0(VALU_DEP_1) | instskip(SKIP_1) | instid1(VALU_DEP_1)
	v_add_f64 v[0:1], v[4:5], v[0:1]
	v_fma_f64 v[4:5], v[170:171], s[18:19], v[216:217]
	v_add_f64 v[0:1], v[4:5], v[0:1]
	v_fma_f64 v[4:5], v[188:189], s[2:3], v[221:222]
	s_delay_alu instid0(VALU_DEP_1)
	v_add_f64 v[0:1], v[4:5], v[0:1]
	v_fma_f64 v[4:5], v[152:153], s[0:1], -v[218:219]
	v_dual_mov_b32 v218, v133 :: v_dual_mov_b32 v133, v255
	s_clause 0x1
	scratch_load_b32 v255, off, off offset:536
	scratch_load_b64 v[32:33], off, off offset:620
	v_mov_b32_e32 v219, v135
	s_waitcnt vmcnt(0)
	v_add_f64 v[4:5], v[4:5], v[32:33]
	v_fma_f64 v[32:33], v[156:157], s[10:11], -v[247:248]
	s_delay_alu instid0(VALU_DEP_1) | instskip(SKIP_1) | instid1(VALU_DEP_1)
	v_add_f64 v[4:5], v[32:33], v[4:5]
	v_fma_f64 v[32:33], v[160:161], s[22:23], -v[239:240]
	v_add_f64 v[4:5], v[32:33], v[4:5]
	v_fma_f64 v[32:33], v[164:165], s[18:19], -v[231:232]
	s_delay_alu instid0(VALU_DEP_1) | instskip(SKIP_1) | instid1(VALU_DEP_1)
	v_add_f64 v[4:5], v[32:33], v[4:5]
	v_fma_f64 v[32:33], v[168:169], s[2:3], -v[214:215]
	v_add_f64 v[4:5], v[32:33], v[4:5]
	v_fma_f64 v[32:33], v[186:187], s[8:9], v[251:252]
	s_delay_alu instid0(VALU_DEP_1) | instskip(SKIP_2) | instid1(VALU_DEP_3)
	v_add_f64 v[0:1], v[32:33], v[0:1]
	v_fma_f64 v[32:33], v[184:185], s[8:9], -v[253:254]
	v_mov_b32_e32 v253, v132
	v_add_f64 v[196:197], v[6:7], v[0:1]
	s_delay_alu instid0(VALU_DEP_3)
	v_add_f64 v[4:5], v[32:33], v[4:5]
	v_fma_f64 v[32:33], v[200:201], s[20:21], -v[120:121]
	scratch_load_b64 v[6:7], off, off offset:604 ; 8-byte Folded Reload
	v_fma_f64 v[0:1], v[154:155], s[8:9], v[94:95]
	v_add_f64 v[194:195], v[32:33], v[4:5]
	scratch_load_b64 v[4:5], off, off offset:612 ; 8-byte Folded Reload
	v_fma_f64 v[32:33], v[200:201], s[2:3], -v[116:117]
	s_waitcnt vmcnt(0)
	v_add_f64 v[0:1], v[0:1], v[4:5]
	v_fma_f64 v[4:5], v[152:153], s[8:9], -v[172:173]
	s_delay_alu instid0(VALU_DEP_1) | instskip(SKIP_1) | instid1(VALU_DEP_1)
	v_add_f64 v[4:5], v[4:5], v[6:7]
	v_fma_f64 v[6:7], v[162:163], s[0:1], v[243:244]
	v_add_f64 v[0:1], v[6:7], v[0:1]
	v_fma_f64 v[6:7], v[156:157], s[0:1], -v[96:97]
	s_delay_alu instid0(VALU_DEP_1) | instskip(SKIP_1) | instid1(VALU_DEP_1)
	v_add_f64 v[4:5], v[6:7], v[4:5]
	v_fma_f64 v[6:7], v[166:167], s[10:11], v[98:99]
	;; [unrolled: 5-line block ×5, first 2 shown]
	v_add_f64 v[0:1], v[6:7], v[0:1]
	v_fma_f64 v[6:7], v[184:185], s[16:17], -v[112:113]
	s_delay_alu instid0(VALU_DEP_1) | instskip(SKIP_1) | instid1(VALU_DEP_2)
	v_add_f64 v[4:5], v[6:7], v[4:5]
	v_fma_f64 v[6:7], v[204:205], s[2:3], v[114:115]
	v_add_f64 v[206:207], v[32:33], v[4:5]
	scratch_load_b64 v[4:5], off, off offset:596 ; 8-byte Folded Reload
	v_add_f64 v[208:209], v[6:7], v[0:1]
	scratch_load_b64 v[6:7], off, off offset:588 ; 8-byte Folded Reload
	v_fma_f64 v[0:1], v[154:155], s[16:17], v[68:69]
	v_fma_f64 v[32:33], v[200:201], s[22:23], -v[92:93]
	s_waitcnt vmcnt(1)
	s_delay_alu instid0(VALU_DEP_2) | instskip(SKIP_2) | instid1(VALU_DEP_1)
	v_add_f64 v[0:1], v[0:1], v[4:5]
	v_fma_f64 v[4:5], v[152:153], s[16:17], -v[70:71]
	s_waitcnt vmcnt(0)
	v_add_f64 v[4:5], v[4:5], v[6:7]
	v_fma_f64 v[6:7], v[162:163], s[8:9], v[245:246]
	s_delay_alu instid0(VALU_DEP_1) | instskip(SKIP_1) | instid1(VALU_DEP_1)
	v_add_f64 v[0:1], v[6:7], v[0:1]
	v_fma_f64 v[6:7], v[156:157], s[8:9], -v[72:73]
	v_add_f64 v[4:5], v[6:7], v[4:5]
	v_fma_f64 v[6:7], v[166:167], s[0:1], v[74:75]
	s_delay_alu instid0(VALU_DEP_1) | instskip(SKIP_1) | instid1(VALU_DEP_1)
	v_add_f64 v[0:1], v[6:7], v[0:1]
	v_fma_f64 v[6:7], v[160:161], s[0:1], -v[76:77]
	;; [unrolled: 5-line block ×5, first 2 shown]
	v_add_f64 v[4:5], v[6:7], v[4:5]
	v_fma_f64 v[6:7], v[204:205], s[22:23], v[90:91]
	s_delay_alu instid0(VALU_DEP_2) | instskip(NEXT) | instid1(VALU_DEP_2)
	v_add_f64 v[210:211], v[32:33], v[4:5]
	v_add_f64 v[212:213], v[6:7], v[0:1]
	s_clause 0x1
	scratch_load_b64 v[6:7], off, off offset:580
	scratch_load_b64 v[32:33], off, off offset:572
	v_fma_f64 v[0:1], v[154:155], s[20:21], v[42:43]
	v_fma_f64 v[4:5], v[162:163], s[18:19], v[44:45]
	s_waitcnt vmcnt(1)
	s_delay_alu instid0(VALU_DEP_2) | instskip(SKIP_4) | instid1(VALU_DEP_4)
	v_add_f64 v[0:1], v[0:1], v[6:7]
	v_fma_f64 v[6:7], v[156:157], s[18:19], -v[46:47]
	s_waitcnt vmcnt(0)
	v_add_f64 v[2:3], v[2:3], v[32:33]
	v_fma_f64 v[32:33], v[166:167], s[16:17], v[48:49]
	v_add_f64 v[0:1], v[4:5], v[0:1]
	v_fma_f64 v[4:5], v[160:161], s[16:17], -v[50:51]
	s_delay_alu instid0(VALU_DEP_4) | instskip(SKIP_1) | instid1(VALU_DEP_4)
	v_add_f64 v[2:3], v[6:7], v[2:3]
	v_fma_f64 v[6:7], v[170:171], s[10:11], v[52:53]
	v_add_f64 v[0:1], v[32:33], v[0:1]
	v_fma_f64 v[32:33], v[164:165], s[10:11], -v[54:55]
	s_delay_alu instid0(VALU_DEP_4) | instskip(SKIP_1) | instid1(VALU_DEP_4)
	;; [unrolled: 5-line block ×3, first 2 shown]
	v_add_f64 v[2:3], v[32:33], v[2:3]
	v_fma_f64 v[32:33], v[186:187], s[2:3], v[60:61]
	v_add_f64 v[0:1], v[4:5], v[0:1]
	v_fma_f64 v[4:5], v[184:185], s[2:3], -v[62:63]
	s_delay_alu instid0(VALU_DEP_4)
	v_add_f64 v[2:3], v[6:7], v[2:3]
	v_fma_f64 v[6:7], v[204:205], s[0:1], v[64:65]
	v_add_nc_u32_e32 v205, 0x550, v226
	v_add_nc_u32_e32 v204, 0xaa0, v226
	v_add_f64 v[0:1], v[32:33], v[0:1]
	v_fma_f64 v[32:33], v[200:201], s[0:1], -v[66:67]
	v_add_f64 v[2:3], v[4:5], v[2:3]
	s_delay_alu instid0(VALU_DEP_3) | instskip(SKIP_1) | instid1(VALU_DEP_3)
	v_add_f64 v[154:155], v[6:7], v[0:1]
	v_mul_lo_u16 v0, v218, 17
	v_add_f64 v[152:153], v[32:33], v[2:3]
	scratch_load_b128 v[1:4], off, off offset:540 ; 16-byte Folded Reload
	v_and_b32_e32 v0, 0xffff, v0
	s_delay_alu instid0(VALU_DEP_1)
	v_lshl_add_u32 v0, v0, 4, v134
	s_waitcnt vmcnt(0)
	ds_store_b128 v0, v[1:4]
	ds_store_b128 v0, v[16:19] offset:16
	ds_store_b128 v0, v[20:23] offset:32
	;; [unrolled: 1-line block ×8, first 2 shown]
	scratch_load_b128 v[1:4], off, off offset:556 ; 16-byte Folded Reload
	s_waitcnt vmcnt(0)
	ds_store_b128 v0, v[1:4] offset:144
	ds_store_b128 v0, v[148:151] offset:160
	;; [unrolled: 1-line block ×8, first 2 shown]
.LBB0_13:
	s_or_b32 exec_lo, exec_lo, s33
	s_waitcnt lgkmcnt(0)
	s_waitcnt_vscnt null, 0x0
	s_barrier
	buffer_gl0_inv
	ds_load_b128 v[0:3], v220 offset:6800
	ds_load_b128 v[4:7], v220 offset:13600
	;; [unrolled: 1-line block ×11, first 2 shown]
	s_clause 0x1
	scratch_load_b128 v[72:75], off, off
	scratch_load_b128 v[88:91], off, off offset:160
	s_mov_b32 s0, 0xe8584caa
	s_mov_b32 s1, 0xbfebb67a
	;; [unrolled: 1-line block ×10, first 2 shown]
	scratch_load_b128 v[94:97], off, off offset:192 ; 16-byte Folded Reload
	s_waitcnt vmcnt(2) lgkmcnt(10)
	v_mul_f64 v[32:33], v[74:75], v[2:3]
	v_mul_f64 v[34:35], v[74:75], v[0:1]
	scratch_load_b128 v[74:77], off, off offset:16 ; 16-byte Folded Reload
	s_waitcnt vmcnt(2) lgkmcnt(4)
	v_mul_f64 v[56:57], v[90:91], v[26:27]
	v_mul_f64 v[60:61], v[90:91], v[24:25]
	;; [unrolled: 4-line block ×3, first 2 shown]
	v_fma_f64 v[32:33], v[72:73], v[0:1], v[32:33]
	v_fma_f64 v[34:35], v[72:73], v[2:3], -v[34:35]
	ds_load_b128 v[0:3], v220
	v_fma_f64 v[24:25], v[88:89], v[24:25], v[56:57]
	v_fma_f64 v[26:27], v[88:89], v[26:27], -v[60:61]
	s_waitcnt vmcnt(1)
	v_mul_f64 v[36:37], v[76:77], v[6:7]
	v_mul_f64 v[38:39], v[76:77], v[4:5]
	scratch_load_b128 v[76:79], off, off offset:32 ; 16-byte Folded Reload
	s_waitcnt vmcnt(1) lgkmcnt(2)
	v_mul_f64 v[66:67], v[92:93], v[150:151]
	v_mul_f64 v[70:71], v[92:93], v[148:149]
	v_fma_f64 v[36:37], v[74:75], v[4:5], v[36:37]
	v_fma_f64 v[38:39], v[74:75], v[6:7], -v[38:39]
	ds_load_b128 v[4:7], v220 offset:1360
	v_add_f64 v[56:57], v[32:33], v[36:37]
	s_waitcnt lgkmcnt(1)
	s_delay_alu instid0(VALU_DEP_1)
	v_fma_f64 v[56:57], v[56:57], -0.5, v[0:1]
	s_waitcnt vmcnt(0)
	v_mul_f64 v[40:41], v[78:79], v[10:11]
	v_mul_f64 v[42:43], v[78:79], v[8:9]
	scratch_load_b128 v[78:81], off, off offset:48 ; 16-byte Folded Reload
	v_fma_f64 v[40:41], v[76:77], v[8:9], v[40:41]
	v_fma_f64 v[42:43], v[76:77], v[10:11], -v[42:43]
	v_add_f64 v[76:77], v[0:1], v[32:33]
	v_add_f64 v[32:33], v[32:33], -v[36:37]
	s_delay_alu instid0(VALU_DEP_2)
	v_add_f64 v[0:1], v[76:77], v[36:37]
	s_waitcnt vmcnt(0)
	v_mul_f64 v[44:45], v[80:81], v[14:15]
	v_mul_f64 v[46:47], v[80:81], v[12:13]
	scratch_load_b128 v[80:83], off, off offset:64 ; 16-byte Folded Reload
	v_fma_f64 v[44:45], v[78:79], v[12:13], v[44:45]
	v_fma_f64 v[46:47], v[78:79], v[14:15], -v[46:47]
	v_add_f64 v[78:79], v[34:35], -v[38:39]
	s_delay_alu instid0(VALU_DEP_3) | instskip(SKIP_2) | instid1(VALU_DEP_2)
	v_add_f64 v[60:61], v[40:41], v[44:45]
	v_add_f64 v[96:97], v[40:41], -v[44:45]
	s_waitcnt lgkmcnt(0)
	v_fma_f64 v[60:61], v[60:61], -0.5, v[4:5]
	s_waitcnt vmcnt(0)
	v_mul_f64 v[48:49], v[82:83], v[18:19]
	v_mul_f64 v[50:51], v[82:83], v[16:17]
	scratch_load_b128 v[82:85], off, off offset:80 ; 16-byte Folded Reload
	v_fma_f64 v[16:17], v[80:81], v[16:17], v[48:49]
	v_fma_f64 v[18:19], v[80:81], v[18:19], -v[50:51]
	v_fma_f64 v[50:51], v[90:91], v[148:149], v[66:67]
	v_fma_f64 v[48:49], v[94:95], v[144:145], v[64:65]
	v_add_f64 v[80:81], v[4:5], v[40:41]
	s_delay_alu instid0(VALU_DEP_2) | instskip(NEXT) | instid1(VALU_DEP_2)
	v_add_f64 v[92:93], v[152:153], v[48:49]
	v_add_f64 v[4:5], v[80:81], v[44:45]
	;; [unrolled: 1-line block ×3, first 2 shown]
	v_add_f64 v[108:109], v[48:49], -v[50:51]
	s_delay_alu instid0(VALU_DEP_2)
	v_fma_f64 v[72:73], v[72:73], -0.5, v[152:153]
	s_waitcnt vmcnt(0)
	v_mul_f64 v[52:53], v[84:85], v[22:23]
	v_mul_f64 v[54:55], v[84:85], v[20:21]
	scratch_load_b128 v[84:87], off, off offset:144 ; 16-byte Folded Reload
	ds_load_b128 v[8:11], v220 offset:2720
	ds_load_b128 v[12:15], v220 offset:4080
	s_waitcnt vmcnt(0) lgkmcnt(0)
	s_barrier
	buffer_gl0_inv
	v_add_f64 v[88:89], v[12:13], v[24:25]
	v_fma_f64 v[20:21], v[82:83], v[20:21], v[52:53]
	v_fma_f64 v[22:23], v[82:83], v[22:23], -v[54:55]
	v_fma_f64 v[54:55], v[90:91], v[150:151], -v[70:71]
	v_add_f64 v[90:91], v[14:15], v[26:27]
	v_fma_f64 v[52:53], v[94:95], v[146:147], -v[68:69]
	v_add_f64 v[82:83], v[6:7], v[42:43]
	v_add_f64 v[64:65], v[16:17], v[20:21]
	;; [unrolled: 1-line block ×3, first 2 shown]
	v_add_f64 v[98:99], v[18:19], -v[22:23]
	v_add_f64 v[100:101], v[16:17], -v[20:21]
	v_add_f64 v[94:95], v[154:155], v[52:53]
	v_add_f64 v[74:75], v[52:53], v[54:55]
	v_add_f64 v[106:107], v[52:53], -v[54:55]
	v_fma_f64 v[64:65], v[64:65], -0.5, v[8:9]
	v_fma_f64 v[66:67], v[66:67], -0.5, v[10:11]
	s_delay_alu instid0(VALU_DEP_4) | instskip(NEXT) | instid1(VALU_DEP_4)
	v_fma_f64 v[74:75], v[74:75], -0.5, v[154:155]
	v_fma_f64 v[148:149], v[106:107], s[0:1], v[72:73]
	v_fma_f64 v[152:153], v[106:107], s[2:3], v[72:73]
	;; [unrolled: 1-line block ×6, first 2 shown]
	v_mul_f64 v[58:59], v[86:87], v[30:31]
	v_mul_f64 v[62:63], v[86:87], v[28:29]
	v_add_f64 v[86:87], v[10:11], v[18:19]
	v_add_f64 v[18:19], v[94:95], v[54:55]
	s_delay_alu instid0(VALU_DEP_4)
	v_fma_f64 v[28:29], v[84:85], v[28:29], v[58:59]
	v_add_f64 v[58:59], v[34:35], v[38:39]
	v_fma_f64 v[30:31], v[84:85], v[30:31], -v[62:63]
	v_add_f64 v[10:11], v[86:87], v[22:23]
	v_add_f64 v[34:35], v[2:3], v[34:35]
	;; [unrolled: 1-line block ×4, first 2 shown]
	v_add_f64 v[42:43], v[42:43], -v[46:47]
	v_add_f64 v[16:17], v[92:93], v[50:51]
	v_fma_f64 v[50:51], v[100:101], s[0:1], v[66:67]
	v_add_f64 v[68:69], v[24:25], v[28:29]
	v_fma_f64 v[58:59], v[58:59], -0.5, v[2:3]
	v_add_f64 v[70:71], v[26:27], v[30:31]
	v_add_f64 v[102:103], v[26:27], -v[30:31]
	v_add_f64 v[2:3], v[34:35], v[38:39]
	v_add_f64 v[8:9], v[84:85], v[20:21]
	v_fma_f64 v[20:21], v[78:79], s[0:1], v[56:57]
	v_add_f64 v[104:105], v[24:25], -v[28:29]
	v_fma_f64 v[24:25], v[78:79], s[2:3], v[56:57]
	v_fma_f64 v[62:63], v[62:63], -0.5, v[6:7]
	v_add_f64 v[6:7], v[82:83], v[46:47]
	v_fma_f64 v[40:41], v[42:43], s[2:3], v[60:61]
	v_fma_f64 v[46:47], v[100:101], s[2:3], v[66:67]
	v_fma_f64 v[68:69], v[68:69], -0.5, v[12:13]
	v_fma_f64 v[22:23], v[32:33], s[2:3], v[58:59]
	v_fma_f64 v[26:27], v[32:33], s[0:1], v[58:59]
	scratch_load_b32 v32, off, off offset:140 ; 4-byte Folded Reload
	v_fma_f64 v[70:71], v[70:71], -0.5, v[14:15]
	v_add_f64 v[12:13], v[88:89], v[28:29]
	v_add_f64 v[14:15], v[90:91], v[30:31]
	v_fma_f64 v[28:29], v[42:43], s[0:1], v[60:61]
	s_waitcnt vmcnt(0)
	ds_store_b128 v32, v[0:3]
	ds_store_b128 v32, v[20:23] offset:272
	ds_store_b128 v32, v[24:27] offset:544
	scratch_load_b32 v0, off, off offset:136 ; 4-byte Folded Reload
	v_fma_f64 v[30:31], v[96:97], s[2:3], v[62:63]
	v_fma_f64 v[42:43], v[96:97], s[0:1], v[62:63]
	;; [unrolled: 1-line block ×6, first 2 shown]
	s_mov_b32 s0, 0x4755a5e
	s_mov_b32 s1, 0xbfe2cf23
	;; [unrolled: 1-line block ×4, first 2 shown]
	s_waitcnt vmcnt(0)
	ds_store_b128 v0, v[4:7]
	ds_store_b128 v0, v[28:31] offset:272
	ds_store_b128 v0, v[40:43] offset:544
	scratch_load_b32 v0, off, off offset:132 ; 4-byte Folded Reload
	s_waitcnt vmcnt(0)
	ds_store_b128 v0, v[8:11]
	ds_store_b128 v0, v[44:47] offset:272
	ds_store_b128 v0, v[48:51] offset:544
	ds_store_b128 v219, v[12:15]
	ds_store_b128 v219, v[52:55] offset:272
	ds_store_b128 v219, v[144:147] offset:544
	scratch_load_b32 v0, off, off offset:128 ; 4-byte Folded Reload
	s_waitcnt vmcnt(0)
	ds_store_b128 v0, v[16:19]
	ds_store_b128 v0, v[148:151] offset:272
	ds_store_b128 v0, v[152:155] offset:544
	s_waitcnt lgkmcnt(0)
	s_barrier
	buffer_gl0_inv
	ds_load_b128 v[0:3], v220 offset:4080
	ds_load_b128 v[4:7], v220 offset:8160
	;; [unrolled: 1-line block ×13, first 2 shown]
	s_clause 0x5
	scratch_load_b128 v[96:99], off, off offset:96
	scratch_load_b128 v[104:107], off, off offset:240
	;; [unrolled: 1-line block ×6, first 2 shown]
	s_waitcnt vmcnt(5) lgkmcnt(12)
	v_mul_f64 v[32:33], v[98:99], v[2:3]
	v_mul_f64 v[34:35], v[98:99], v[0:1]
	scratch_load_b128 v[98:101], off, off offset:112 ; 16-byte Folded Reload
	s_waitcnt vmcnt(5) lgkmcnt(10)
	v_mul_f64 v[38:39], v[106:107], v[10:11]
	v_mul_f64 v[62:63], v[106:107], v[8:9]
	scratch_load_b128 v[106:109], off, off offset:256 ; 16-byte Folded Reload
	;; [unrolled: 4-line block ×3, first 2 shown]
	s_waitcnt lgkmcnt(6)
	v_mul_f64 v[70:71], v[118:119], v[26:27]
	v_mul_f64 v[76:77], v[118:119], v[24:25]
	scratch_load_b128 v[118:121], off, off offset:340 ; 16-byte Folded Reload
	s_waitcnt lgkmcnt(3)
	v_mul_f64 v[80:81], v[124:125], v[46:47]
	v_mul_f64 v[82:83], v[124:125], v[44:45]
	scratch_load_b128 v[124:127], off, off offset:376 ; 16-byte Folded Reload
	s_waitcnt lgkmcnt(1)
	v_mul_f64 v[86:87], v[130:131], v[54:55]
	v_mul_f64 v[92:93], v[130:131], v[52:53]
	v_fma_f64 v[32:33], v[96:97], v[0:1], v[32:33]
	v_fma_f64 v[34:35], v[96:97], v[2:3], -v[34:35]
	ds_load_b128 v[0:3], v220
	v_fma_f64 v[8:9], v[104:105], v[8:9], v[38:39]
	v_fma_f64 v[10:11], v[104:105], v[10:11], -v[62:63]
	v_fma_f64 v[16:17], v[110:111], v[16:17], v[64:65]
	v_fma_f64 v[18:19], v[110:111], v[18:19], -v[66:67]
	;; [unrolled: 2-line block ×5, first 2 shown]
	s_delay_alu instid0(VALU_DEP_3)
	v_add_f64 v[128:129], v[42:43], v[46:47]
	s_waitcnt vmcnt(4)
	v_mul_f64 v[36:37], v[100:101], v[6:7]
	v_mul_f64 v[56:57], v[100:101], v[4:5]
	scratch_load_b128 v[100:103], off, off offset:224 ; 16-byte Folded Reload
	s_waitcnt vmcnt(4)
	v_mul_f64 v[68:69], v[108:109], v[22:23]
	v_mul_f64 v[72:73], v[108:109], v[20:21]
	s_waitcnt vmcnt(3)
	v_mul_f64 v[78:79], v[114:115], v[28:29]
	v_mul_f64 v[74:75], v[114:115], v[30:31]
	;; [unrolled: 3-line block ×3, first 2 shown]
	s_waitcnt vmcnt(1) lgkmcnt(1)
	v_mul_f64 v[90:91], v[126:127], v[146:147]
	v_mul_f64 v[94:95], v[126:127], v[144:145]
	v_add_f64 v[126:127], v[40:41], v[44:45]
	v_fma_f64 v[36:37], v[98:99], v[4:5], v[36:37]
	v_fma_f64 v[38:39], v[98:99], v[6:7], -v[56:57]
	ds_load_b128 v[4:7], v220 offset:1360
	v_fma_f64 v[20:21], v[106:107], v[20:21], v[68:69]
	v_fma_f64 v[22:23], v[106:107], v[22:23], -v[72:73]
	s_waitcnt lgkmcnt(1)
	v_add_f64 v[62:63], v[0:1], v[32:33]
	s_waitcnt vmcnt(0) lgkmcnt(0)
	s_barrier
	buffer_gl0_inv
	v_fma_f64 v[48:49], v[118:119], v[48:49], v[84:85]
	v_fma_f64 v[30:31], v[112:113], v[30:31], -v[78:79]
	v_fma_f64 v[50:51], v[118:119], v[50:51], -v[88:89]
	v_fma_f64 v[56:57], v[124:125], v[144:145], v[90:91]
	v_fma_f64 v[28:29], v[112:113], v[28:29], v[74:75]
	v_add_f64 v[90:91], v[2:3], v[34:35]
	v_add_f64 v[108:109], v[4:5], v[16:17]
	;; [unrolled: 1-line block ×3, first 2 shown]
	v_add_f64 v[74:75], v[32:33], -v[36:37]
	v_add_f64 v[68:69], v[38:39], v[10:11]
	v_add_f64 v[70:71], v[38:39], -v[10:11]
	v_add_f64 v[76:77], v[20:21], v[24:25]
	;; [unrolled: 2-line block ×3, first 2 shown]
	v_add_f64 v[96:97], v[36:37], -v[8:9]
	v_add_f64 v[112:113], v[22:23], -v[26:27]
	;; [unrolled: 1-line block ×5, first 2 shown]
	v_add_f64 v[92:93], v[48:49], v[52:53]
	v_add_f64 v[88:89], v[18:19], v[30:31]
	;; [unrolled: 1-line block ×3, first 2 shown]
	v_add_f64 v[110:111], v[18:19], -v[30:31]
	v_add_f64 v[18:19], v[22:23], -v[18:19]
	;; [unrolled: 1-line block ×3, first 2 shown]
	v_add_f64 v[80:81], v[16:17], v[28:29]
	v_add_f64 v[116:117], v[28:29], -v[24:25]
	v_add_f64 v[120:121], v[24:25], -v[28:29]
	;; [unrolled: 1-line block ×4, first 2 shown]
	v_add_f64 v[22:23], v[122:123], v[22:23]
	v_fma_f64 v[68:69], v[68:69], -0.5, v[2:3]
	v_fma_f64 v[76:77], v[76:77], -0.5, v[4:5]
	;; [unrolled: 1-line block ×6, first 2 shown]
	v_add_f64 v[88:89], v[56:57], -v[52:53]
	v_fma_f64 v[4:5], v[80:81], -0.5, v[4:5]
	v_add_f64 v[80:81], v[50:51], -v[54:55]
	v_add_f64 v[114:115], v[114:115], v[116:117]
	v_add_f64 v[116:117], v[118:119], v[120:121]
	v_fma_f64 v[156:157], v[148:149], s[10:11], v[98:99]
	v_fma_f64 v[98:99], v[148:149], s[8:9], v[98:99]
	v_mul_f64 v[58:59], v[102:103], v[14:15]
	v_mul_f64 v[60:61], v[102:103], v[12:13]
	v_add_f64 v[102:103], v[34:35], -v[38:39]
	s_delay_alu instid0(VALU_DEP_3) | instskip(NEXT) | instid1(VALU_DEP_3)
	v_fma_f64 v[12:13], v[100:101], v[12:13], v[58:59]
	v_fma_f64 v[14:15], v[100:101], v[14:15], -v[60:61]
	v_fma_f64 v[58:59], v[124:125], v[146:147], -v[94:95]
	v_add_f64 v[60:61], v[36:37], v[8:9]
	v_add_f64 v[94:95], v[44:45], v[56:57]
	v_add_f64 v[124:125], v[20:21], -v[24:25]
	v_add_f64 v[146:147], v[44:45], -v[48:49]
	;; [unrolled: 1-line block ×3, first 2 shown]
	v_add_f64 v[36:37], v[62:63], v[36:37]
	v_add_f64 v[20:21], v[108:109], v[20:21]
	v_fma_f64 v[108:109], v[16:17], s[10:11], v[84:85]
	v_fma_f64 v[84:85], v[16:17], s[8:9], v[84:85]
	v_add_f64 v[64:65], v[32:33], v[12:13]
	v_add_f64 v[72:73], v[34:35], v[14:15]
	v_add_f64 v[78:79], v[12:13], -v[8:9]
	v_add_f64 v[86:87], v[8:9], -v[12:13]
	v_add_f64 v[100:101], v[46:47], v[58:59]
	v_fma_f64 v[60:61], v[60:61], -0.5, v[0:1]
	v_fma_f64 v[40:41], v[94:95], -0.5, v[40:41]
	v_add_f64 v[94:95], v[48:49], -v[52:53]
	v_add_f64 v[48:49], v[126:127], v[48:49]
	v_add_f64 v[66:67], v[34:35], -v[14:15]
	v_add_f64 v[8:9], v[36:37], v[8:9]
	v_add_f64 v[32:33], v[32:33], -v[12:13]
	v_add_f64 v[104:105], v[14:15], -v[10:11]
	;; [unrolled: 1-line block ×3, first 2 shown]
	v_add_f64 v[38:39], v[90:91], v[38:39]
	v_add_f64 v[144:145], v[46:47], -v[58:59]
	v_add_f64 v[46:47], v[50:51], -v[46:47]
	;; [unrolled: 1-line block ×4, first 2 shown]
	v_add_f64 v[50:51], v[128:129], v[50:51]
	v_fma_f64 v[122:123], v[124:125], s[8:9], v[6:7]
	v_fma_f64 v[6:7], v[124:125], s[10:11], v[6:7]
	v_add_f64 v[152:153], v[58:59], -v[54:55]
	v_add_f64 v[88:89], v[146:147], v[88:89]
	v_fma_f64 v[0:1], v[64:65], -0.5, v[0:1]
	v_fma_f64 v[2:3], v[72:73], -0.5, v[2:3]
	v_add_f64 v[72:73], v[26:27], -v[30:31]
	v_add_f64 v[62:63], v[74:75], v[78:79]
	v_fma_f64 v[42:43], v[100:101], -0.5, v[42:43]
	v_add_f64 v[100:101], v[52:53], -v[56:57]
	v_add_f64 v[74:75], v[82:83], v[86:87]
	v_add_f64 v[64:65], v[30:31], -v[26:27]
	v_fma_f64 v[128:129], v[80:81], s[10:11], v[40:41]
	v_fma_f64 v[82:83], v[66:67], s[8:9], v[60:61]
	;; [unrolled: 1-line block ×4, first 2 shown]
	v_add_f64 v[78:79], v[102:103], v[104:105]
	v_fma_f64 v[68:69], v[32:33], s[8:9], v[68:69]
	v_add_f64 v[10:11], v[38:39], v[10:11]
	v_fma_f64 v[104:105], v[110:111], s[8:9], v[76:77]
	v_fma_f64 v[76:77], v[110:111], s[10:11], v[76:77]
	v_add_f64 v[120:121], v[46:47], v[154:155]
	v_add_f64 v[34:35], v[34:35], v[106:107]
	v_fma_f64 v[106:107], v[112:113], s[10:11], v[4:5]
	v_fma_f64 v[4:5], v[112:113], s[8:9], v[4:5]
	;; [unrolled: 1-line block ×5, first 2 shown]
	v_add_f64 v[118:119], v[150:151], v[152:153]
	v_fma_f64 v[86:87], v[70:71], s[10:11], v[0:1]
	v_fma_f64 v[0:1], v[70:71], s[8:9], v[0:1]
	v_add_f64 v[72:73], v[18:19], v[72:73]
	v_add_f64 v[18:19], v[20:21], v[24:25]
	;; [unrolled: 1-line block ×5, first 2 shown]
	v_fma_f64 v[102:103], v[96:97], s[8:9], v[2:3]
	v_fma_f64 v[2:3], v[96:97], s[10:11], v[2:3]
	v_fma_f64 v[26:27], v[70:71], s[0:1], v[82:83]
	v_add_f64 v[24:25], v[50:51], v[54:55]
	v_fma_f64 v[46:47], v[96:97], s[2:3], v[90:91]
	v_fma_f64 v[36:37], v[70:71], s[2:3], v[60:61]
	;; [unrolled: 1-line block ×6, first 2 shown]
	v_add_f64 v[64:65], v[130:131], v[64:65]
	v_fma_f64 v[52:53], v[112:113], s[0:1], v[104:105]
	v_fma_f64 v[68:69], v[124:125], s[2:3], v[108:109]
	;; [unrolled: 1-line block ×13, first 2 shown]
	v_add_f64 v[0:1], v[8:9], v[12:13]
	v_fma_f64 v[66:67], v[110:111], s[2:3], v[4:5]
	v_add_f64 v[6:7], v[20:21], v[30:31]
	v_add_f64 v[8:9], v[22:23], v[56:57]
	scratch_load_b32 v56, off, off offset:356 ; 4-byte Folded Reload
	v_fma_f64 v[50:51], v[32:33], s[2:3], v[102:103]
	v_fma_f64 v[32:33], v[32:33], s[0:1], v[2:3]
	v_add_f64 v[2:3], v[10:11], v[14:15]
	v_fma_f64 v[12:13], v[62:63], s[16:17], v[26:27]
	v_fma_f64 v[14:15], v[78:79], s[16:17], v[46:47]
	v_add_f64 v[10:11], v[24:25], v[58:59]
	v_add_f64 v[4:5], v[18:19], v[28:29]
	v_fma_f64 v[16:17], v[62:63], s[16:17], v[36:37]
	v_fma_f64 v[18:19], v[78:79], s[16:17], v[48:49]
	;; [unrolled: 1-line block ×22, first 2 shown]
	s_waitcnt vmcnt(0)
	ds_store_b128 v56, v[0:3]
	ds_store_b128 v56, v[12:15] offset:816
	ds_store_b128 v56, v[20:23] offset:1632
	;; [unrolled: 1-line block ×4, first 2 shown]
	v_fma_f64 v[52:53], v[100:101], s[16:17], v[86:87]
	v_fma_f64 v[54:55], v[120:121], s[16:17], v[96:97]
	;; [unrolled: 1-line block ×3, first 2 shown]
	scratch_load_b32 v0, off, off offset:336 ; 4-byte Folded Reload
	s_waitcnt vmcnt(0)
	ds_store_b128 v0, v[4:7]
	ds_store_b128 v0, v[28:31] offset:816
	ds_store_b128 v0, v[36:39] offset:1632
	;; [unrolled: 1-line block ×4, first 2 shown]
	ds_store_b128 v133, v[8:11]
	ds_store_b128 v133, v[44:47] offset:816
	ds_store_b128 v133, v[52:55] offset:1632
	;; [unrolled: 1-line block ×4, first 2 shown]
	s_waitcnt lgkmcnt(0)
	s_barrier
	buffer_gl0_inv
	ds_load_b128 v[0:3], v220 offset:4080
	ds_load_b128 v[4:7], v220 offset:8160
	ds_load_b128 v[8:11], v220 offset:12240
	ds_load_b128 v[12:15], v220 offset:16320
	ds_load_b128 v[16:19], v220 offset:5440
	ds_load_b128 v[20:23], v220 offset:9520
	ds_load_b128 v[24:27], v220 offset:13600
	ds_load_b128 v[28:31], v220 offset:17680
	ds_load_b128 v[32:35], v220 offset:2720
	ds_load_b128 v[36:39], v220 offset:6800
	ds_load_b128 v[40:43], v220 offset:10880
	ds_load_b128 v[44:47], v220 offset:14960
	ds_load_b128 v[48:51], v220 offset:19040
	s_clause 0x5
	scratch_load_b128 v[100:103], off, off offset:208
	scratch_load_b128 v[106:109], off, off offset:408
	;; [unrolled: 1-line block ×6, first 2 shown]
	s_waitcnt lgkmcnt(1)
	v_mul_f64 v[90:91], v[142:143], v[46:47]
	v_mul_f64 v[96:97], v[142:143], v[44:45]
	s_waitcnt lgkmcnt(0)
	v_mul_f64 v[94:95], v[138:139], v[50:51]
	v_mul_f64 v[98:99], v[138:139], v[48:49]
	s_delay_alu instid0(VALU_DEP_4) | instskip(NEXT) | instid1(VALU_DEP_4)
	v_fma_f64 v[44:45], v[140:141], v[44:45], v[90:91]
	v_fma_f64 v[46:47], v[140:141], v[46:47], -v[96:97]
	s_delay_alu instid0(VALU_DEP_4) | instskip(NEXT) | instid1(VALU_DEP_4)
	v_fma_f64 v[48:49], v[136:137], v[48:49], v[94:95]
	v_fma_f64 v[50:51], v[136:137], v[50:51], -v[98:99]
	s_delay_alu instid0(VALU_DEP_1)
	v_add_f64 v[142:143], v[46:47], -v[50:51]
	v_add_f64 v[140:141], v[50:51], -v[46:47]
	s_waitcnt vmcnt(5)
	v_mul_f64 v[52:53], v[102:103], v[2:3]
	v_mul_f64 v[54:55], v[102:103], v[0:1]
	scratch_load_b128 v[102:105], off, off offset:320 ; 16-byte Folded Reload
	s_waitcnt vmcnt(5)
	v_mul_f64 v[58:59], v[108:109], v[10:11]
	v_mul_f64 v[66:67], v[108:109], v[8:9]
	s_waitcnt vmcnt(1)
	v_mul_f64 v[62:63], v[112:113], v[14:15]
	v_mul_f64 v[64:65], v[112:113], v[12:13]
	scratch_load_b128 v[112:115], off, off offset:440 ; 16-byte Folded Reload
	v_mul_f64 v[68:69], v[118:119], v[18:19]
	v_mul_f64 v[70:71], v[118:119], v[16:17]
	scratch_load_b128 v[118:121], off, off offset:472 ; 16-byte Folded Reload
	;; [unrolled: 3-line block ×3, first 2 shown]
	v_mul_f64 v[84:85], v[130:131], v[38:39]
	v_mul_f64 v[86:87], v[130:131], v[36:37]
	v_fma_f64 v[52:53], v[100:101], v[0:1], v[52:53]
	v_fma_f64 v[54:55], v[100:101], v[2:3], -v[54:55]
	ds_load_b128 v[0:3], v220
	v_fma_f64 v[8:9], v[106:107], v[8:9], v[58:59]
	v_fma_f64 v[10:11], v[106:107], v[10:11], -v[66:67]
	v_fma_f64 v[12:13], v[110:111], v[12:13], v[62:63]
	v_fma_f64 v[14:15], v[110:111], v[14:15], -v[64:65]
	v_fma_f64 v[16:17], v[116:117], v[16:17], v[68:69]
	v_fma_f64 v[18:19], v[116:117], v[18:19], -v[70:71]
	v_fma_f64 v[24:25], v[122:123], v[24:25], v[74:75]
	v_fma_f64 v[26:27], v[122:123], v[26:27], -v[80:81]
	v_fma_f64 v[36:37], v[128:129], v[36:37], v[84:85]
	v_fma_f64 v[38:39], v[128:129], v[38:39], -v[86:87]
	v_add_f64 v[64:65], v[52:53], v[12:13]
	v_add_f64 v[66:67], v[54:55], -v[14:15]
	v_add_f64 v[86:87], v[8:9], -v[12:13]
	;; [unrolled: 1-line block ×3, first 2 shown]
	v_add_f64 v[94:95], v[36:37], v[48:49]
	v_add_f64 v[100:101], v[38:39], v[50:51]
	;; [unrolled: 1-line block ×3, first 2 shown]
	v_add_f64 v[132:133], v[38:39], -v[50:51]
	v_add_f64 v[136:137], v[36:37], -v[48:49]
	s_waitcnt vmcnt(3)
	v_mul_f64 v[56:57], v[104:105], v[6:7]
	v_mul_f64 v[60:61], v[104:105], v[4:5]
	v_add_f64 v[104:105], v[14:15], -v[10:11]
	s_waitcnt vmcnt(2)
	v_mul_f64 v[72:73], v[114:115], v[22:23]
	v_mul_f64 v[76:77], v[114:115], v[20:21]
	s_waitcnt vmcnt(1)
	v_mul_f64 v[78:79], v[120:121], v[30:31]
	v_mul_f64 v[82:83], v[120:121], v[28:29]
	;; [unrolled: 3-line block ×3, first 2 shown]
	v_add_f64 v[126:127], v[32:33], v[36:37]
	v_fma_f64 v[56:57], v[102:103], v[4:5], v[56:57]
	v_fma_f64 v[58:59], v[102:103], v[6:7], -v[60:61]
	ds_load_b128 v[4:7], v220 offset:1360
	s_waitcnt lgkmcnt(1)
	v_add_f64 v[62:63], v[0:1], v[52:53]
	v_add_f64 v[90:91], v[2:3], v[54:55]
	v_fma_f64 v[20:21], v[112:113], v[20:21], v[72:73]
	v_fma_f64 v[22:23], v[112:113], v[22:23], -v[76:77]
	v_add_f64 v[72:73], v[54:55], v[14:15]
	v_fma_f64 v[28:29], v[118:119], v[28:29], v[78:79]
	v_fma_f64 v[30:31], v[118:119], v[30:31], -v[82:83]
	v_add_f64 v[78:79], v[12:13], -v[8:9]
	v_fma_f64 v[40:41], v[124:125], v[40:41], v[88:89]
	v_fma_f64 v[42:43], v[124:125], v[42:43], -v[92:93]
	s_waitcnt lgkmcnt(0)
	v_add_f64 v[108:109], v[4:5], v[16:17]
	v_add_f64 v[122:123], v[6:7], v[18:19]
	;; [unrolled: 1-line block ×4, first 2 shown]
	v_add_f64 v[74:75], v[52:53], -v[56:57]
	v_add_f64 v[82:83], v[56:57], -v[52:53]
	;; [unrolled: 1-line block ×7, first 2 shown]
	v_add_f64 v[56:57], v[62:63], v[56:57]
	v_add_f64 v[58:59], v[90:91], v[58:59]
	;; [unrolled: 1-line block ×8, first 2 shown]
	v_add_f64 v[110:111], v[18:19], -v[30:31]
	v_add_f64 v[114:115], v[16:17], -v[20:21]
	;; [unrolled: 1-line block ×8, first 2 shown]
	v_add_f64 v[20:21], v[108:109], v[20:21]
	v_add_f64 v[22:23], v[122:123], v[22:23]
	v_add_f64 v[134:135], v[36:37], -v[40:41]
	v_add_f64 v[36:37], v[40:41], -v[36:37]
	;; [unrolled: 1-line block ×6, first 2 shown]
	v_fma_f64 v[60:61], v[60:61], -0.5, v[0:1]
	v_fma_f64 v[68:69], v[68:69], -0.5, v[2:3]
	;; [unrolled: 1-line block ×4, first 2 shown]
	v_add_f64 v[72:73], v[26:27], -v[30:31]
	v_add_f64 v[62:63], v[74:75], v[78:79]
	v_add_f64 v[74:75], v[82:83], v[86:87]
	;; [unrolled: 1-line block ×3, first 2 shown]
	v_add_f64 v[64:65], v[30:31], -v[26:27]
	v_add_f64 v[54:55], v[54:55], v[106:107]
	v_add_f64 v[8:9], v[56:57], v[8:9]
	;; [unrolled: 1-line block ×3, first 2 shown]
	v_fma_f64 v[76:77], v[76:77], -0.5, v[4:5]
	v_fma_f64 v[84:85], v[84:85], -0.5, v[6:7]
	v_fma_f64 v[4:5], v[80:81], -0.5, v[4:5]
	v_fma_f64 v[6:7], v[88:89], -0.5, v[6:7]
	v_fma_f64 v[92:93], v[92:93], -0.5, v[32:33]
	v_fma_f64 v[98:99], v[98:99], -0.5, v[34:35]
	v_add_f64 v[80:81], v[42:43], -v[46:47]
	v_fma_f64 v[32:33], v[94:95], -0.5, v[32:33]
	v_add_f64 v[94:95], v[40:41], -v[44:45]
	v_fma_f64 v[34:35], v[100:101], -0.5, v[34:35]
	v_add_f64 v[40:41], v[126:127], v[40:41]
	v_add_f64 v[42:43], v[128:129], v[42:43]
	v_add_f64 v[100:101], v[44:45], -v[48:49]
	v_add_f64 v[88:89], v[48:49], -v[44:45]
	v_add_f64 v[114:115], v[114:115], v[116:117]
	v_add_f64 v[116:117], v[118:119], v[120:121]
	;; [unrolled: 1-line block ×4, first 2 shown]
	v_fma_f64 v[82:83], v[66:67], s[8:9], v[60:61]
	v_fma_f64 v[90:91], v[52:53], s[10:11], v[68:69]
	;; [unrolled: 1-line block ×8, first 2 shown]
	v_add_f64 v[72:73], v[18:19], v[72:73]
	v_add_f64 v[18:19], v[20:21], v[24:25]
	;; [unrolled: 1-line block ×4, first 2 shown]
	v_fma_f64 v[104:105], v[110:111], s[8:9], v[76:77]
	v_fma_f64 v[108:109], v[16:17], s[10:11], v[84:85]
	;; [unrolled: 1-line block ×16, first 2 shown]
	v_add_f64 v[22:23], v[40:41], v[44:45]
	v_add_f64 v[24:25], v[42:43], v[46:47]
	v_add_f64 v[100:101], v[36:37], v[100:101]
	v_add_f64 v[88:89], v[134:135], v[88:89]
	v_fma_f64 v[26:27], v[70:71], s[0:1], v[82:83]
	v_fma_f64 v[42:43], v[96:97], s[2:3], v[90:91]
	;; [unrolled: 1-line block ×8, first 2 shown]
	v_add_f64 v[0:1], v[8:9], v[12:13]
	v_add_f64 v[2:3], v[10:11], v[14:15]
	v_fma_f64 v[56:57], v[112:113], s[0:1], v[104:105]
	v_fma_f64 v[68:69], v[124:125], s[2:3], v[108:109]
	;; [unrolled: 1-line block ×16, first 2 shown]
	v_add_f64 v[4:5], v[18:19], v[28:29]
	v_add_f64 v[6:7], v[20:21], v[30:31]
	;; [unrolled: 1-line block ×4, first 2 shown]
	v_fma_f64 v[12:13], v[62:63], s[16:17], v[26:27]
	v_fma_f64 v[14:15], v[78:79], s[16:17], v[42:43]
	;; [unrolled: 1-line block ×24, first 2 shown]
	ds_store_b128 v225, v[0:3]
	ds_store_b128 v226, v[4:7] offset:1360
	ds_store_b128 v226, v[8:11] offset:2720
	;; [unrolled: 1-line block ×14, first 2 shown]
	s_waitcnt lgkmcnt(0)
	s_barrier
	buffer_gl0_inv
	s_and_b32 exec_lo, exec_lo, vcc_lo
	s_cbranch_execz .LBB0_15
; %bb.14:
	global_load_b128 v[0:3], v255, s[12:13]
	ds_load_b128 v[4:7], v225
	ds_load_b128 v[8:11], v226 offset:1200
	s_mov_b32 s0, 0xe68019b3
	s_mov_b32 s1, 0x3f49b34c
	s_mul_i32 s2, s5, 0x4b0
	s_mul_i32 s3, s4, 0x4b0
	s_waitcnt vmcnt(0) lgkmcnt(1)
	v_mul_f64 v[12:13], v[6:7], v[2:3]
	v_mul_f64 v[2:3], v[4:5], v[2:3]
	s_delay_alu instid0(VALU_DEP_2) | instskip(NEXT) | instid1(VALU_DEP_2)
	v_fma_f64 v[4:5], v[4:5], v[0:1], v[12:13]
	v_fma_f64 v[2:3], v[0:1], v[6:7], -v[2:3]
	v_mad_u64_u32 v[6:7], null, s6, v253, 0
	v_mad_u64_u32 v[12:13], null, s4, v218, 0
	s_delay_alu instid0(VALU_DEP_4) | instskip(NEXT) | instid1(VALU_DEP_4)
	v_mul_f64 v[0:1], v[4:5], s[0:1]
	v_mul_f64 v[2:3], v[2:3], s[0:1]
	s_delay_alu instid0(VALU_DEP_3) | instskip(NEXT) | instid1(VALU_DEP_1)
	v_dual_mov_b32 v4, v7 :: v_dual_mov_b32 v5, v13
	v_mad_u64_u32 v[13:14], null, s7, v253, v[4:5]
	v_mad_u64_u32 v[14:15], null, s5, v218, v[5:6]
	s_mul_hi_u32 s5, s4, 0x4b0
	v_add_co_u32 v18, s4, s12, v255
	s_add_i32 s2, s5, s2
	s_delay_alu instid0(VALU_DEP_3) | instskip(SKIP_1) | instid1(VALU_DEP_4)
	v_mov_b32_e32 v7, v13
	v_add_co_ci_u32_e64 v19, null, s13, 0, s4
	v_mov_b32_e32 v13, v14
	s_delay_alu instid0(VALU_DEP_3) | instskip(NEXT) | instid1(VALU_DEP_2)
	v_lshlrev_b64 v[4:5], 4, v[6:7]
	v_lshlrev_b64 v[6:7], 4, v[12:13]
	s_delay_alu instid0(VALU_DEP_2) | instskip(NEXT) | instid1(VALU_DEP_3)
	v_add_co_u32 v4, vcc_lo, s14, v4
	v_add_co_ci_u32_e32 v5, vcc_lo, s15, v5, vcc_lo
	s_delay_alu instid0(VALU_DEP_2) | instskip(NEXT) | instid1(VALU_DEP_2)
	v_add_co_u32 v4, vcc_lo, v4, v6
	v_add_co_ci_u32_e32 v5, vcc_lo, v5, v7, vcc_lo
	s_delay_alu instid0(VALU_DEP_2)
	v_add_co_u32 v12, vcc_lo, v4, s3
	global_store_b128 v[4:5], v[0:3], off
	global_load_b128 v[0:3], v255, s[12:13] offset:1200
	v_add_co_ci_u32_e32 v13, vcc_lo, s2, v5, vcc_lo
	s_waitcnt vmcnt(0) lgkmcnt(0)
	v_mul_f64 v[6:7], v[10:11], v[2:3]
	v_mul_f64 v[2:3], v[8:9], v[2:3]
	s_delay_alu instid0(VALU_DEP_2) | instskip(NEXT) | instid1(VALU_DEP_2)
	v_fma_f64 v[6:7], v[8:9], v[0:1], v[6:7]
	v_fma_f64 v[2:3], v[0:1], v[10:11], -v[2:3]
	s_delay_alu instid0(VALU_DEP_2) | instskip(NEXT) | instid1(VALU_DEP_2)
	v_mul_f64 v[0:1], v[6:7], s[0:1]
	v_mul_f64 v[2:3], v[2:3], s[0:1]
	global_store_b128 v[12:13], v[0:3], off
	global_load_b128 v[0:3], v255, s[12:13] offset:2400
	ds_load_b128 v[4:7], v226 offset:2400
	ds_load_b128 v[8:11], v226 offset:3600
	s_waitcnt vmcnt(0) lgkmcnt(1)
	v_mul_f64 v[14:15], v[6:7], v[2:3]
	v_mul_f64 v[2:3], v[4:5], v[2:3]
	s_delay_alu instid0(VALU_DEP_2) | instskip(NEXT) | instid1(VALU_DEP_2)
	v_fma_f64 v[4:5], v[4:5], v[0:1], v[14:15]
	v_fma_f64 v[2:3], v[0:1], v[6:7], -v[2:3]
	s_delay_alu instid0(VALU_DEP_2) | instskip(NEXT) | instid1(VALU_DEP_2)
	v_mul_f64 v[0:1], v[4:5], s[0:1]
	v_mul_f64 v[2:3], v[2:3], s[0:1]
	v_add_co_u32 v4, vcc_lo, v12, s3
	v_add_co_ci_u32_e32 v5, vcc_lo, s2, v13, vcc_lo
	s_delay_alu instid0(VALU_DEP_2) | instskip(NEXT) | instid1(VALU_DEP_2)
	v_add_co_u32 v12, vcc_lo, v4, s3
	v_add_co_ci_u32_e32 v13, vcc_lo, s2, v5, vcc_lo
	v_add_co_u32 v14, vcc_lo, 0x1000, v18
	v_add_co_ci_u32_e32 v15, vcc_lo, 0, v19, vcc_lo
	global_store_b128 v[4:5], v[0:3], off
	global_load_b128 v[0:3], v255, s[12:13] offset:3600
	s_waitcnt vmcnt(0) lgkmcnt(0)
	v_mul_f64 v[6:7], v[10:11], v[2:3]
	v_mul_f64 v[2:3], v[8:9], v[2:3]
	s_delay_alu instid0(VALU_DEP_2) | instskip(NEXT) | instid1(VALU_DEP_2)
	v_fma_f64 v[6:7], v[8:9], v[0:1], v[6:7]
	v_fma_f64 v[2:3], v[0:1], v[10:11], -v[2:3]
	s_delay_alu instid0(VALU_DEP_2) | instskip(NEXT) | instid1(VALU_DEP_2)
	v_mul_f64 v[0:1], v[6:7], s[0:1]
	v_mul_f64 v[2:3], v[2:3], s[0:1]
	global_store_b128 v[12:13], v[0:3], off
	global_load_b128 v[0:3], v[14:15], off offset:704
	ds_load_b128 v[4:7], v226 offset:4800
	ds_load_b128 v[8:11], v226 offset:6000
	s_waitcnt vmcnt(0) lgkmcnt(1)
	v_mul_f64 v[16:17], v[6:7], v[2:3]
	v_mul_f64 v[2:3], v[4:5], v[2:3]
	s_delay_alu instid0(VALU_DEP_2) | instskip(NEXT) | instid1(VALU_DEP_2)
	v_fma_f64 v[4:5], v[4:5], v[0:1], v[16:17]
	v_fma_f64 v[2:3], v[0:1], v[6:7], -v[2:3]
	s_delay_alu instid0(VALU_DEP_2) | instskip(NEXT) | instid1(VALU_DEP_2)
	v_mul_f64 v[0:1], v[4:5], s[0:1]
	v_mul_f64 v[2:3], v[2:3], s[0:1]
	v_add_co_u32 v4, vcc_lo, v12, s3
	v_add_co_ci_u32_e32 v5, vcc_lo, s2, v13, vcc_lo
	s_delay_alu instid0(VALU_DEP_2) | instskip(NEXT) | instid1(VALU_DEP_2)
	v_add_co_u32 v12, vcc_lo, v4, s3
	v_add_co_ci_u32_e32 v13, vcc_lo, s2, v5, vcc_lo
	global_store_b128 v[4:5], v[0:3], off
	global_load_b128 v[0:3], v[14:15], off offset:1904
	s_waitcnt vmcnt(0) lgkmcnt(0)
	v_mul_f64 v[6:7], v[10:11], v[2:3]
	v_mul_f64 v[2:3], v[8:9], v[2:3]
	s_delay_alu instid0(VALU_DEP_2) | instskip(NEXT) | instid1(VALU_DEP_2)
	v_fma_f64 v[6:7], v[8:9], v[0:1], v[6:7]
	v_fma_f64 v[2:3], v[0:1], v[10:11], -v[2:3]
	s_delay_alu instid0(VALU_DEP_2) | instskip(NEXT) | instid1(VALU_DEP_2)
	v_mul_f64 v[0:1], v[6:7], s[0:1]
	v_mul_f64 v[2:3], v[2:3], s[0:1]
	global_store_b128 v[12:13], v[0:3], off
	global_load_b128 v[0:3], v[14:15], off offset:3104
	ds_load_b128 v[4:7], v226 offset:7200
	ds_load_b128 v[8:11], v226 offset:8400
	s_waitcnt vmcnt(0) lgkmcnt(1)
	v_mul_f64 v[14:15], v[6:7], v[2:3]
	v_mul_f64 v[2:3], v[4:5], v[2:3]
	s_delay_alu instid0(VALU_DEP_2) | instskip(NEXT) | instid1(VALU_DEP_2)
	v_fma_f64 v[4:5], v[4:5], v[0:1], v[14:15]
	v_fma_f64 v[2:3], v[0:1], v[6:7], -v[2:3]
	s_delay_alu instid0(VALU_DEP_2) | instskip(NEXT) | instid1(VALU_DEP_2)
	v_mul_f64 v[0:1], v[4:5], s[0:1]
	v_mul_f64 v[2:3], v[2:3], s[0:1]
	v_add_co_u32 v4, vcc_lo, v12, s3
	v_add_co_ci_u32_e32 v5, vcc_lo, s2, v13, vcc_lo
	v_add_co_u32 v12, vcc_lo, 0x2000, v18
	v_add_co_ci_u32_e32 v13, vcc_lo, 0, v19, vcc_lo
	s_delay_alu instid0(VALU_DEP_4) | instskip(NEXT) | instid1(VALU_DEP_4)
	v_add_co_u32 v14, vcc_lo, v4, s3
	v_add_co_ci_u32_e32 v15, vcc_lo, s2, v5, vcc_lo
	global_store_b128 v[4:5], v[0:3], off
	global_load_b128 v[0:3], v[12:13], off offset:208
	s_waitcnt vmcnt(0) lgkmcnt(0)
	v_mul_f64 v[6:7], v[10:11], v[2:3]
	v_mul_f64 v[2:3], v[8:9], v[2:3]
	s_delay_alu instid0(VALU_DEP_2) | instskip(NEXT) | instid1(VALU_DEP_2)
	v_fma_f64 v[6:7], v[8:9], v[0:1], v[6:7]
	v_fma_f64 v[2:3], v[0:1], v[10:11], -v[2:3]
	s_delay_alu instid0(VALU_DEP_2) | instskip(NEXT) | instid1(VALU_DEP_2)
	v_mul_f64 v[0:1], v[6:7], s[0:1]
	v_mul_f64 v[2:3], v[2:3], s[0:1]
	global_store_b128 v[14:15], v[0:3], off
	global_load_b128 v[0:3], v[12:13], off offset:1408
	ds_load_b128 v[4:7], v226 offset:9600
	ds_load_b128 v[8:11], v226 offset:10800
	s_waitcnt vmcnt(0) lgkmcnt(1)
	v_mul_f64 v[16:17], v[6:7], v[2:3]
	v_mul_f64 v[2:3], v[4:5], v[2:3]
	s_delay_alu instid0(VALU_DEP_2) | instskip(NEXT) | instid1(VALU_DEP_2)
	v_fma_f64 v[4:5], v[4:5], v[0:1], v[16:17]
	v_fma_f64 v[2:3], v[0:1], v[6:7], -v[2:3]
	s_delay_alu instid0(VALU_DEP_2) | instskip(NEXT) | instid1(VALU_DEP_2)
	v_mul_f64 v[0:1], v[4:5], s[0:1]
	v_mul_f64 v[2:3], v[2:3], s[0:1]
	v_add_co_u32 v4, vcc_lo, v14, s3
	v_add_co_ci_u32_e32 v5, vcc_lo, s2, v15, vcc_lo
	s_delay_alu instid0(VALU_DEP_2) | instskip(NEXT) | instid1(VALU_DEP_2)
	v_add_co_u32 v14, vcc_lo, v4, s3
	v_add_co_ci_u32_e32 v15, vcc_lo, s2, v5, vcc_lo
	global_store_b128 v[4:5], v[0:3], off
	global_load_b128 v[0:3], v[12:13], off offset:2608
	s_waitcnt vmcnt(0) lgkmcnt(0)
	v_mul_f64 v[6:7], v[10:11], v[2:3]
	v_mul_f64 v[2:3], v[8:9], v[2:3]
	s_delay_alu instid0(VALU_DEP_2) | instskip(NEXT) | instid1(VALU_DEP_2)
	v_fma_f64 v[6:7], v[8:9], v[0:1], v[6:7]
	v_fma_f64 v[2:3], v[0:1], v[10:11], -v[2:3]
	s_delay_alu instid0(VALU_DEP_2) | instskip(NEXT) | instid1(VALU_DEP_2)
	v_mul_f64 v[0:1], v[6:7], s[0:1]
	v_mul_f64 v[2:3], v[2:3], s[0:1]
	global_store_b128 v[14:15], v[0:3], off
	global_load_b128 v[0:3], v[12:13], off offset:3808
	ds_load_b128 v[4:7], v226 offset:12000
	ds_load_b128 v[8:11], v226 offset:13200
	s_waitcnt vmcnt(0) lgkmcnt(1)
	v_mul_f64 v[12:13], v[6:7], v[2:3]
	v_mul_f64 v[2:3], v[4:5], v[2:3]
	s_delay_alu instid0(VALU_DEP_2) | instskip(NEXT) | instid1(VALU_DEP_2)
	v_fma_f64 v[4:5], v[4:5], v[0:1], v[12:13]
	v_fma_f64 v[2:3], v[0:1], v[6:7], -v[2:3]
	s_delay_alu instid0(VALU_DEP_2) | instskip(NEXT) | instid1(VALU_DEP_2)
	v_mul_f64 v[0:1], v[4:5], s[0:1]
	v_mul_f64 v[2:3], v[2:3], s[0:1]
	v_add_co_u32 v4, vcc_lo, v14, s3
	v_add_co_ci_u32_e32 v5, vcc_lo, s2, v15, vcc_lo
	v_add_co_u32 v12, vcc_lo, 0x3000, v18
	v_add_co_ci_u32_e32 v13, vcc_lo, 0, v19, vcc_lo
	s_delay_alu instid0(VALU_DEP_4) | instskip(NEXT) | instid1(VALU_DEP_4)
	v_add_co_u32 v14, vcc_lo, v4, s3
	v_add_co_ci_u32_e32 v15, vcc_lo, s2, v5, vcc_lo
	global_store_b128 v[4:5], v[0:3], off
	global_load_b128 v[0:3], v[12:13], off offset:912
	s_waitcnt vmcnt(0) lgkmcnt(0)
	v_mul_f64 v[6:7], v[10:11], v[2:3]
	v_mul_f64 v[2:3], v[8:9], v[2:3]
	s_delay_alu instid0(VALU_DEP_2) | instskip(NEXT) | instid1(VALU_DEP_2)
	v_fma_f64 v[6:7], v[8:9], v[0:1], v[6:7]
	v_fma_f64 v[2:3], v[0:1], v[10:11], -v[2:3]
	s_delay_alu instid0(VALU_DEP_2) | instskip(NEXT) | instid1(VALU_DEP_2)
	v_mul_f64 v[0:1], v[6:7], s[0:1]
	v_mul_f64 v[2:3], v[2:3], s[0:1]
	global_store_b128 v[14:15], v[0:3], off
	global_load_b128 v[0:3], v[12:13], off offset:2112
	ds_load_b128 v[4:7], v226 offset:14400
	ds_load_b128 v[8:11], v226 offset:15600
	s_waitcnt vmcnt(0) lgkmcnt(1)
	v_mul_f64 v[16:17], v[6:7], v[2:3]
	v_mul_f64 v[2:3], v[4:5], v[2:3]
	s_delay_alu instid0(VALU_DEP_2) | instskip(NEXT) | instid1(VALU_DEP_2)
	v_fma_f64 v[4:5], v[4:5], v[0:1], v[16:17]
	v_fma_f64 v[2:3], v[0:1], v[6:7], -v[2:3]
	s_delay_alu instid0(VALU_DEP_2) | instskip(NEXT) | instid1(VALU_DEP_2)
	v_mul_f64 v[0:1], v[4:5], s[0:1]
	v_mul_f64 v[2:3], v[2:3], s[0:1]
	v_add_co_u32 v4, vcc_lo, v14, s3
	v_add_co_ci_u32_e32 v5, vcc_lo, s2, v15, vcc_lo
	global_store_b128 v[4:5], v[0:3], off
	global_load_b128 v[0:3], v[12:13], off offset:3312
	v_add_co_u32 v12, vcc_lo, v4, s3
	v_add_co_ci_u32_e32 v13, vcc_lo, s2, v5, vcc_lo
	v_add_co_u32 v14, vcc_lo, 0x4000, v18
	v_add_co_ci_u32_e32 v15, vcc_lo, 0, v19, vcc_lo
	s_waitcnt vmcnt(0) lgkmcnt(0)
	v_mul_f64 v[6:7], v[10:11], v[2:3]
	v_mul_f64 v[2:3], v[8:9], v[2:3]
	s_delay_alu instid0(VALU_DEP_2) | instskip(NEXT) | instid1(VALU_DEP_2)
	v_fma_f64 v[6:7], v[8:9], v[0:1], v[6:7]
	v_fma_f64 v[2:3], v[0:1], v[10:11], -v[2:3]
	s_delay_alu instid0(VALU_DEP_2) | instskip(NEXT) | instid1(VALU_DEP_2)
	v_mul_f64 v[0:1], v[6:7], s[0:1]
	v_mul_f64 v[2:3], v[2:3], s[0:1]
	global_store_b128 v[12:13], v[0:3], off
	global_load_b128 v[0:3], v[14:15], off offset:416
	ds_load_b128 v[4:7], v226 offset:16800
	ds_load_b128 v[8:11], v226 offset:18000
	s_waitcnt vmcnt(0) lgkmcnt(1)
	v_mul_f64 v[16:17], v[6:7], v[2:3]
	v_mul_f64 v[2:3], v[4:5], v[2:3]
	s_delay_alu instid0(VALU_DEP_2) | instskip(NEXT) | instid1(VALU_DEP_2)
	v_fma_f64 v[4:5], v[4:5], v[0:1], v[16:17]
	v_fma_f64 v[2:3], v[0:1], v[6:7], -v[2:3]
	s_delay_alu instid0(VALU_DEP_2) | instskip(NEXT) | instid1(VALU_DEP_2)
	v_mul_f64 v[0:1], v[4:5], s[0:1]
	v_mul_f64 v[2:3], v[2:3], s[0:1]
	v_add_co_u32 v4, vcc_lo, v12, s3
	v_add_co_ci_u32_e32 v5, vcc_lo, s2, v13, vcc_lo
	global_store_b128 v[4:5], v[0:3], off
	global_load_b128 v[0:3], v[14:15], off offset:1616
	s_waitcnt vmcnt(0) lgkmcnt(0)
	v_mul_f64 v[6:7], v[10:11], v[2:3]
	v_mul_f64 v[2:3], v[8:9], v[2:3]
	s_delay_alu instid0(VALU_DEP_2) | instskip(NEXT) | instid1(VALU_DEP_2)
	v_fma_f64 v[6:7], v[8:9], v[0:1], v[6:7]
	v_fma_f64 v[2:3], v[0:1], v[10:11], -v[2:3]
	v_add_co_u32 v8, vcc_lo, v4, s3
	v_add_co_ci_u32_e32 v9, vcc_lo, s2, v5, vcc_lo
	s_delay_alu instid0(VALU_DEP_4) | instskip(NEXT) | instid1(VALU_DEP_4)
	v_mul_f64 v[0:1], v[6:7], s[0:1]
	v_mul_f64 v[2:3], v[2:3], s[0:1]
	ds_load_b128 v[4:7], v226 offset:19200
	global_store_b128 v[8:9], v[0:3], off
	global_load_b128 v[0:3], v[14:15], off offset:2816
	s_waitcnt vmcnt(0) lgkmcnt(0)
	v_mul_f64 v[10:11], v[6:7], v[2:3]
	v_mul_f64 v[2:3], v[4:5], v[2:3]
	s_delay_alu instid0(VALU_DEP_2) | instskip(NEXT) | instid1(VALU_DEP_2)
	v_fma_f64 v[4:5], v[4:5], v[0:1], v[10:11]
	v_fma_f64 v[2:3], v[0:1], v[6:7], -v[2:3]
	s_delay_alu instid0(VALU_DEP_2) | instskip(NEXT) | instid1(VALU_DEP_2)
	v_mul_f64 v[0:1], v[4:5], s[0:1]
	v_mul_f64 v[2:3], v[2:3], s[0:1]
	v_add_co_u32 v4, vcc_lo, v8, s3
	v_add_co_ci_u32_e32 v5, vcc_lo, s2, v9, vcc_lo
	global_store_b128 v[4:5], v[0:3], off
.LBB0_15:
	s_nop 0
	s_sendmsg sendmsg(MSG_DEALLOC_VGPRS)
	s_endpgm
	.section	.rodata,"a",@progbits
	.p2align	6, 0x0
	.amdhsa_kernel bluestein_single_fwd_len1275_dim1_dp_op_CI_CI
		.amdhsa_group_segment_fixed_size 61200
		.amdhsa_private_segment_fixed_size 672
		.amdhsa_kernarg_size 104
		.amdhsa_user_sgpr_count 15
		.amdhsa_user_sgpr_dispatch_ptr 0
		.amdhsa_user_sgpr_queue_ptr 0
		.amdhsa_user_sgpr_kernarg_segment_ptr 1
		.amdhsa_user_sgpr_dispatch_id 0
		.amdhsa_user_sgpr_private_segment_size 0
		.amdhsa_wavefront_size32 1
		.amdhsa_uses_dynamic_stack 0
		.amdhsa_enable_private_segment 1
		.amdhsa_system_sgpr_workgroup_id_x 1
		.amdhsa_system_sgpr_workgroup_id_y 0
		.amdhsa_system_sgpr_workgroup_id_z 0
		.amdhsa_system_sgpr_workgroup_info 0
		.amdhsa_system_vgpr_workitem_id 0
		.amdhsa_next_free_vgpr 256
		.amdhsa_next_free_sgpr 58
		.amdhsa_reserve_vcc 1
		.amdhsa_float_round_mode_32 0
		.amdhsa_float_round_mode_16_64 0
		.amdhsa_float_denorm_mode_32 3
		.amdhsa_float_denorm_mode_16_64 3
		.amdhsa_dx10_clamp 1
		.amdhsa_ieee_mode 1
		.amdhsa_fp16_overflow 0
		.amdhsa_workgroup_processor_mode 1
		.amdhsa_memory_ordered 1
		.amdhsa_forward_progress 0
		.amdhsa_shared_vgpr_count 0
		.amdhsa_exception_fp_ieee_invalid_op 0
		.amdhsa_exception_fp_denorm_src 0
		.amdhsa_exception_fp_ieee_div_zero 0
		.amdhsa_exception_fp_ieee_overflow 0
		.amdhsa_exception_fp_ieee_underflow 0
		.amdhsa_exception_fp_ieee_inexact 0
		.amdhsa_exception_int_div_zero 0
	.end_amdhsa_kernel
	.text
.Lfunc_end0:
	.size	bluestein_single_fwd_len1275_dim1_dp_op_CI_CI, .Lfunc_end0-bluestein_single_fwd_len1275_dim1_dp_op_CI_CI
                                        ; -- End function
	.section	.AMDGPU.csdata,"",@progbits
; Kernel info:
; codeLenInByte = 32300
; NumSgprs: 60
; NumVgprs: 256
; ScratchSize: 672
; MemoryBound: 0
; FloatMode: 240
; IeeeMode: 1
; LDSByteSize: 61200 bytes/workgroup (compile time only)
; SGPRBlocks: 7
; VGPRBlocks: 31
; NumSGPRsForWavesPerEU: 60
; NumVGPRsForWavesPerEU: 256
; Occupancy: 4
; WaveLimiterHint : 1
; COMPUTE_PGM_RSRC2:SCRATCH_EN: 1
; COMPUTE_PGM_RSRC2:USER_SGPR: 15
; COMPUTE_PGM_RSRC2:TRAP_HANDLER: 0
; COMPUTE_PGM_RSRC2:TGID_X_EN: 1
; COMPUTE_PGM_RSRC2:TGID_Y_EN: 0
; COMPUTE_PGM_RSRC2:TGID_Z_EN: 0
; COMPUTE_PGM_RSRC2:TIDIG_COMP_CNT: 0
	.text
	.p2alignl 7, 3214868480
	.fill 96, 4, 3214868480
	.type	__hip_cuid_26895e56ac0287d0,@object ; @__hip_cuid_26895e56ac0287d0
	.section	.bss,"aw",@nobits
	.globl	__hip_cuid_26895e56ac0287d0
__hip_cuid_26895e56ac0287d0:
	.byte	0                               ; 0x0
	.size	__hip_cuid_26895e56ac0287d0, 1

	.ident	"AMD clang version 19.0.0git (https://github.com/RadeonOpenCompute/llvm-project roc-6.4.0 25133 c7fe45cf4b819c5991fe208aaa96edf142730f1d)"
	.section	".note.GNU-stack","",@progbits
	.addrsig
	.addrsig_sym __hip_cuid_26895e56ac0287d0
	.amdgpu_metadata
---
amdhsa.kernels:
  - .args:
      - .actual_access:  read_only
        .address_space:  global
        .offset:         0
        .size:           8
        .value_kind:     global_buffer
      - .actual_access:  read_only
        .address_space:  global
        .offset:         8
        .size:           8
        .value_kind:     global_buffer
      - .actual_access:  read_only
        .address_space:  global
        .offset:         16
        .size:           8
        .value_kind:     global_buffer
      - .actual_access:  read_only
        .address_space:  global
        .offset:         24
        .size:           8
        .value_kind:     global_buffer
      - .actual_access:  read_only
        .address_space:  global
        .offset:         32
        .size:           8
        .value_kind:     global_buffer
      - .offset:         40
        .size:           8
        .value_kind:     by_value
      - .address_space:  global
        .offset:         48
        .size:           8
        .value_kind:     global_buffer
      - .address_space:  global
        .offset:         56
        .size:           8
        .value_kind:     global_buffer
      - .address_space:  global
        .offset:         64
        .size:           8
        .value_kind:     global_buffer
      - .address_space:  global
        .offset:         72
        .size:           8
        .value_kind:     global_buffer
      - .offset:         80
        .size:           4
        .value_kind:     by_value
      - .address_space:  global
        .offset:         88
        .size:           8
        .value_kind:     global_buffer
      - .address_space:  global
        .offset:         96
        .size:           8
        .value_kind:     global_buffer
    .group_segment_fixed_size: 61200
    .kernarg_segment_align: 8
    .kernarg_segment_size: 104
    .language:       OpenCL C
    .language_version:
      - 2
      - 0
    .max_flat_workgroup_size: 255
    .name:           bluestein_single_fwd_len1275_dim1_dp_op_CI_CI
    .private_segment_fixed_size: 672
    .sgpr_count:     60
    .sgpr_spill_count: 0
    .symbol:         bluestein_single_fwd_len1275_dim1_dp_op_CI_CI.kd
    .uniform_work_group_size: 1
    .uses_dynamic_stack: false
    .vgpr_count:     256
    .vgpr_spill_count: 167
    .wavefront_size: 32
    .workgroup_processor_mode: 1
amdhsa.target:   amdgcn-amd-amdhsa--gfx1100
amdhsa.version:
  - 1
  - 2
...

	.end_amdgpu_metadata
